;; amdgpu-corpus repo=ROCm/rocFFT kind=compiled arch=gfx1201 opt=O3
	.text
	.amdgcn_target "amdgcn-amd-amdhsa--gfx1201"
	.amdhsa_code_object_version 6
	.protected	fft_rtc_back_len578_factors_17_17_2_wgs_238_tpt_34_halfLds_sp_ip_CI_sbrr_dirReg ; -- Begin function fft_rtc_back_len578_factors_17_17_2_wgs_238_tpt_34_halfLds_sp_ip_CI_sbrr_dirReg
	.globl	fft_rtc_back_len578_factors_17_17_2_wgs_238_tpt_34_halfLds_sp_ip_CI_sbrr_dirReg
	.p2align	8
	.type	fft_rtc_back_len578_factors_17_17_2_wgs_238_tpt_34_halfLds_sp_ip_CI_sbrr_dirReg,@function
fft_rtc_back_len578_factors_17_17_2_wgs_238_tpt_34_halfLds_sp_ip_CI_sbrr_dirReg: ; @fft_rtc_back_len578_factors_17_17_2_wgs_238_tpt_34_halfLds_sp_ip_CI_sbrr_dirReg
; %bb.0:
	s_clause 0x1
	s_load_b64 s[12:13], s[0:1], 0x18
	s_load_b128 s[4:7], s[0:1], 0x0
	v_mul_u32_u24_e32 v1, 0x788, v0
	v_mov_b32_e32 v6, 0
	s_load_b64 s[10:11], s[0:1], 0x50
	s_wait_kmcnt 0x0
	s_load_b64 s[8:9], s[12:13], 0x0
	v_lshrrev_b32_e32 v1, 16, v1
	v_cmp_lt_u64_e64 s2, s[6:7], 2
	s_delay_alu instid0(VALU_DEP_2) | instskip(SKIP_4) | instid1(VALU_DEP_1)
	v_mad_co_u64_u32 v[2:3], null, ttmp9, 7, v[1:2]
	v_mov_b32_e32 v4, 0
	v_mov_b32_e32 v5, 0
	;; [unrolled: 1-line block ×3, first 2 shown]
	s_and_b32 vcc_lo, exec_lo, s2
	v_dual_mov_b32 v11, v3 :: v_dual_mov_b32 v10, v2
	s_cbranch_vccnz .LBB0_8
; %bb.1:
	s_load_b64 s[2:3], s[0:1], 0x10
	v_dual_mov_b32 v4, 0 :: v_dual_mov_b32 v9, v3
	v_dual_mov_b32 v5, 0 :: v_dual_mov_b32 v8, v2
	s_add_nc_u64 s[14:15], s[12:13], 8
	s_mov_b64 s[16:17], 1
	s_wait_kmcnt 0x0
	s_add_nc_u64 s[18:19], s[2:3], 8
	s_mov_b32 s3, 0
.LBB0_2:                                ; =>This Inner Loop Header: Depth=1
	s_load_b64 s[20:21], s[18:19], 0x0
                                        ; implicit-def: $vgpr10_vgpr11
	s_mov_b32 s2, exec_lo
	s_wait_kmcnt 0x0
	v_or_b32_e32 v7, s21, v9
	s_delay_alu instid0(VALU_DEP_1)
	v_cmpx_ne_u64_e32 0, v[6:7]
	s_wait_alu 0xfffe
	s_xor_b32 s22, exec_lo, s2
	s_cbranch_execz .LBB0_4
; %bb.3:                                ;   in Loop: Header=BB0_2 Depth=1
	s_cvt_f32_u32 s2, s20
	s_cvt_f32_u32 s23, s21
	s_sub_nc_u64 s[26:27], 0, s[20:21]
	s_wait_alu 0xfffe
	s_delay_alu instid0(SALU_CYCLE_1) | instskip(SKIP_1) | instid1(SALU_CYCLE_2)
	s_fmamk_f32 s2, s23, 0x4f800000, s2
	s_wait_alu 0xfffe
	v_s_rcp_f32 s2, s2
	s_delay_alu instid0(TRANS32_DEP_1) | instskip(SKIP_1) | instid1(SALU_CYCLE_2)
	s_mul_f32 s2, s2, 0x5f7ffffc
	s_wait_alu 0xfffe
	s_mul_f32 s23, s2, 0x2f800000
	s_wait_alu 0xfffe
	s_delay_alu instid0(SALU_CYCLE_2) | instskip(SKIP_1) | instid1(SALU_CYCLE_2)
	s_trunc_f32 s23, s23
	s_wait_alu 0xfffe
	s_fmamk_f32 s2, s23, 0xcf800000, s2
	s_cvt_u32_f32 s25, s23
	s_wait_alu 0xfffe
	s_delay_alu instid0(SALU_CYCLE_1) | instskip(SKIP_1) | instid1(SALU_CYCLE_2)
	s_cvt_u32_f32 s24, s2
	s_wait_alu 0xfffe
	s_mul_u64 s[28:29], s[26:27], s[24:25]
	s_wait_alu 0xfffe
	s_mul_hi_u32 s31, s24, s29
	s_mul_i32 s30, s24, s29
	s_mul_hi_u32 s2, s24, s28
	s_mul_i32 s33, s25, s28
	s_wait_alu 0xfffe
	s_add_nc_u64 s[30:31], s[2:3], s[30:31]
	s_mul_hi_u32 s23, s25, s28
	s_mul_hi_u32 s34, s25, s29
	s_add_co_u32 s2, s30, s33
	s_wait_alu 0xfffe
	s_add_co_ci_u32 s2, s31, s23
	s_mul_i32 s28, s25, s29
	s_add_co_ci_u32 s29, s34, 0
	s_wait_alu 0xfffe
	s_add_nc_u64 s[28:29], s[2:3], s[28:29]
	s_wait_alu 0xfffe
	v_add_co_u32 v1, s2, s24, s28
	s_delay_alu instid0(VALU_DEP_1) | instskip(SKIP_1) | instid1(VALU_DEP_1)
	s_cmp_lg_u32 s2, 0
	s_add_co_ci_u32 s25, s25, s29
	v_readfirstlane_b32 s24, v1
	s_wait_alu 0xfffe
	s_delay_alu instid0(VALU_DEP_1)
	s_mul_u64 s[26:27], s[26:27], s[24:25]
	s_wait_alu 0xfffe
	s_mul_hi_u32 s29, s24, s27
	s_mul_i32 s28, s24, s27
	s_mul_hi_u32 s2, s24, s26
	s_mul_i32 s30, s25, s26
	s_wait_alu 0xfffe
	s_add_nc_u64 s[28:29], s[2:3], s[28:29]
	s_mul_hi_u32 s23, s25, s26
	s_mul_hi_u32 s24, s25, s27
	s_wait_alu 0xfffe
	s_add_co_u32 s2, s28, s30
	s_add_co_ci_u32 s2, s29, s23
	s_mul_i32 s26, s25, s27
	s_add_co_ci_u32 s27, s24, 0
	s_wait_alu 0xfffe
	s_add_nc_u64 s[26:27], s[2:3], s[26:27]
	s_wait_alu 0xfffe
	v_add_co_u32 v1, s2, v1, s26
	s_delay_alu instid0(VALU_DEP_1) | instskip(SKIP_1) | instid1(VALU_DEP_1)
	s_cmp_lg_u32 s2, 0
	s_add_co_ci_u32 s2, s25, s27
	v_mul_hi_u32 v3, v8, v1
	s_wait_alu 0xfffe
	v_mad_co_u64_u32 v[10:11], null, v8, s2, 0
	v_mad_co_u64_u32 v[12:13], null, v9, v1, 0
	;; [unrolled: 1-line block ×3, first 2 shown]
	s_delay_alu instid0(VALU_DEP_3) | instskip(SKIP_1) | instid1(VALU_DEP_4)
	v_add_co_u32 v1, vcc_lo, v3, v10
	s_wait_alu 0xfffd
	v_add_co_ci_u32_e32 v3, vcc_lo, 0, v11, vcc_lo
	s_delay_alu instid0(VALU_DEP_2) | instskip(SKIP_1) | instid1(VALU_DEP_2)
	v_add_co_u32 v1, vcc_lo, v1, v12
	s_wait_alu 0xfffd
	v_add_co_ci_u32_e32 v1, vcc_lo, v3, v13, vcc_lo
	s_wait_alu 0xfffd
	v_add_co_ci_u32_e32 v3, vcc_lo, 0, v15, vcc_lo
	s_delay_alu instid0(VALU_DEP_2) | instskip(SKIP_1) | instid1(VALU_DEP_2)
	v_add_co_u32 v1, vcc_lo, v1, v14
	s_wait_alu 0xfffd
	v_add_co_ci_u32_e32 v3, vcc_lo, 0, v3, vcc_lo
	s_delay_alu instid0(VALU_DEP_2) | instskip(SKIP_1) | instid1(VALU_DEP_3)
	v_mul_lo_u32 v7, s21, v1
	v_mad_co_u64_u32 v[10:11], null, s20, v1, 0
	v_mul_lo_u32 v12, s20, v3
	s_delay_alu instid0(VALU_DEP_2) | instskip(NEXT) | instid1(VALU_DEP_2)
	v_sub_co_u32 v10, vcc_lo, v8, v10
	v_add3_u32 v7, v11, v12, v7
	s_delay_alu instid0(VALU_DEP_1) | instskip(SKIP_1) | instid1(VALU_DEP_1)
	v_sub_nc_u32_e32 v11, v9, v7
	s_wait_alu 0xfffd
	v_subrev_co_ci_u32_e64 v11, s2, s21, v11, vcc_lo
	v_add_co_u32 v12, s2, v1, 2
	s_wait_alu 0xf1ff
	v_add_co_ci_u32_e64 v13, s2, 0, v3, s2
	v_sub_co_u32 v14, s2, v10, s20
	v_sub_co_ci_u32_e32 v7, vcc_lo, v9, v7, vcc_lo
	s_wait_alu 0xf1ff
	v_subrev_co_ci_u32_e64 v11, s2, 0, v11, s2
	s_delay_alu instid0(VALU_DEP_3) | instskip(NEXT) | instid1(VALU_DEP_3)
	v_cmp_le_u32_e32 vcc_lo, s20, v14
	v_cmp_eq_u32_e64 s2, s21, v7
	s_wait_alu 0xfffd
	v_cndmask_b32_e64 v14, 0, -1, vcc_lo
	v_cmp_le_u32_e32 vcc_lo, s21, v11
	s_wait_alu 0xfffd
	v_cndmask_b32_e64 v15, 0, -1, vcc_lo
	v_cmp_le_u32_e32 vcc_lo, s20, v10
	;; [unrolled: 3-line block ×3, first 2 shown]
	s_wait_alu 0xfffd
	v_cndmask_b32_e64 v16, 0, -1, vcc_lo
	v_cmp_eq_u32_e32 vcc_lo, s21, v11
	s_wait_alu 0xf1ff
	s_delay_alu instid0(VALU_DEP_2)
	v_cndmask_b32_e64 v7, v16, v10, s2
	s_wait_alu 0xfffd
	v_cndmask_b32_e32 v11, v15, v14, vcc_lo
	v_add_co_u32 v14, vcc_lo, v1, 1
	s_wait_alu 0xfffd
	v_add_co_ci_u32_e32 v15, vcc_lo, 0, v3, vcc_lo
	s_delay_alu instid0(VALU_DEP_3) | instskip(SKIP_2) | instid1(VALU_DEP_3)
	v_cmp_ne_u32_e32 vcc_lo, 0, v11
	s_wait_alu 0xfffd
	v_cndmask_b32_e32 v12, v14, v12, vcc_lo
	v_cndmask_b32_e32 v10, v15, v13, vcc_lo
	v_cmp_ne_u32_e32 vcc_lo, 0, v7
	s_wait_alu 0xfffd
	s_delay_alu instid0(VALU_DEP_2)
	v_dual_cndmask_b32 v11, v3, v10 :: v_dual_cndmask_b32 v10, v1, v12
.LBB0_4:                                ;   in Loop: Header=BB0_2 Depth=1
	s_wait_alu 0xfffe
	s_and_not1_saveexec_b32 s2, s22
	s_cbranch_execz .LBB0_6
; %bb.5:                                ;   in Loop: Header=BB0_2 Depth=1
	v_cvt_f32_u32_e32 v1, s20
	s_sub_co_i32 s22, 0, s20
	v_mov_b32_e32 v11, v6
	s_delay_alu instid0(VALU_DEP_2) | instskip(NEXT) | instid1(TRANS32_DEP_1)
	v_rcp_iflag_f32_e32 v1, v1
	v_mul_f32_e32 v1, 0x4f7ffffe, v1
	s_delay_alu instid0(VALU_DEP_1) | instskip(SKIP_1) | instid1(VALU_DEP_1)
	v_cvt_u32_f32_e32 v1, v1
	s_wait_alu 0xfffe
	v_mul_lo_u32 v3, s22, v1
	s_delay_alu instid0(VALU_DEP_1) | instskip(NEXT) | instid1(VALU_DEP_1)
	v_mul_hi_u32 v3, v1, v3
	v_add_nc_u32_e32 v1, v1, v3
	s_delay_alu instid0(VALU_DEP_1) | instskip(NEXT) | instid1(VALU_DEP_1)
	v_mul_hi_u32 v1, v8, v1
	v_mul_lo_u32 v3, v1, s20
	v_add_nc_u32_e32 v7, 1, v1
	s_delay_alu instid0(VALU_DEP_2) | instskip(NEXT) | instid1(VALU_DEP_1)
	v_sub_nc_u32_e32 v3, v8, v3
	v_cmp_le_u32_e32 vcc_lo, s20, v3
	v_subrev_nc_u32_e32 v10, s20, v3
	s_wait_alu 0xfffd
	v_cndmask_b32_e32 v1, v1, v7, vcc_lo
	s_delay_alu instid0(VALU_DEP_1) | instskip(NEXT) | instid1(VALU_DEP_3)
	v_add_nc_u32_e32 v7, 1, v1
	v_cndmask_b32_e32 v3, v3, v10, vcc_lo
	s_delay_alu instid0(VALU_DEP_1) | instskip(SKIP_1) | instid1(VALU_DEP_3)
	v_cmp_le_u32_e32 vcc_lo, s20, v3
	s_wait_alu 0xfffd
	v_cndmask_b32_e32 v10, v1, v7, vcc_lo
.LBB0_6:                                ;   in Loop: Header=BB0_2 Depth=1
	s_wait_alu 0xfffe
	s_or_b32 exec_lo, exec_lo, s2
	s_load_b64 s[22:23], s[14:15], 0x0
	v_mul_lo_u32 v1, v11, s20
	v_mul_lo_u32 v3, v10, s21
	v_mad_co_u64_u32 v[12:13], null, v10, s20, 0
	s_add_nc_u64 s[16:17], s[16:17], 1
	s_add_nc_u64 s[14:15], s[14:15], 8
	s_wait_alu 0xfffe
	v_cmp_ge_u64_e64 s2, s[16:17], s[6:7]
	s_add_nc_u64 s[18:19], s[18:19], 8
	s_delay_alu instid0(VALU_DEP_2) | instskip(NEXT) | instid1(VALU_DEP_3)
	v_add3_u32 v1, v13, v3, v1
	v_sub_co_u32 v3, vcc_lo, v8, v12
	s_wait_alu 0xfffd
	s_delay_alu instid0(VALU_DEP_2) | instskip(SKIP_3) | instid1(VALU_DEP_2)
	v_sub_co_ci_u32_e32 v1, vcc_lo, v9, v1, vcc_lo
	s_and_b32 vcc_lo, exec_lo, s2
	s_wait_kmcnt 0x0
	v_mul_lo_u32 v7, s23, v3
	v_mul_lo_u32 v1, s22, v1
	v_mad_co_u64_u32 v[4:5], null, s22, v3, v[4:5]
	s_delay_alu instid0(VALU_DEP_1)
	v_add3_u32 v5, v7, v5, v1
	s_wait_alu 0xfffe
	s_cbranch_vccnz .LBB0_8
; %bb.7:                                ;   in Loop: Header=BB0_2 Depth=1
	v_dual_mov_b32 v8, v10 :: v_dual_mov_b32 v9, v11
	s_branch .LBB0_2
.LBB0_8:
	s_lshl_b64 s[2:3], s[6:7], 3
	v_mul_hi_u32 v1, 0x7878788, v0
	s_wait_alu 0xfffe
	s_add_nc_u64 s[2:3], s[12:13], s[2:3]
	s_load_b64 s[0:1], s[0:1], 0x20
	s_load_b64 s[2:3], s[2:3], 0x0
                                        ; implicit-def: $vgpr7
                                        ; implicit-def: $vgpr9
                                        ; implicit-def: $vgpr13
                                        ; implicit-def: $vgpr8
	s_delay_alu instid0(VALU_DEP_1) | instskip(NEXT) | instid1(VALU_DEP_1)
	v_mul_u32_u24_e32 v1, 34, v1
	v_sub_nc_u32_e32 v0, v0, v1
	s_delay_alu instid0(VALU_DEP_1)
	v_add_nc_u32_e32 v50, 34, v0
	v_add_nc_u32_e32 v54, 0x44, v0
	;; [unrolled: 1-line block ×4, first 2 shown]
	s_wait_kmcnt 0x0
	v_cmp_gt_u64_e32 vcc_lo, s[0:1], v[10:11]
	v_mul_lo_u32 v1, s2, v11
	v_mul_lo_u32 v6, s3, v10
	v_mad_co_u64_u32 v[3:4], null, s2, v10, v[4:5]
	v_cmp_le_u64_e64 s0, s[0:1], v[10:11]
	v_add_nc_u32_e32 v49, 0xaa, v0
	v_add_nc_u32_e32 v48, 0xcc, v0
	v_add_nc_u32_e32 v53, 0xee, v0
                                        ; implicit-def: $sgpr2_sgpr3
                                        ; implicit-def: $vgpr5
                                        ; implicit-def: $vgpr11
	v_add3_u32 v4, v6, v4, v1
                                        ; implicit-def: $vgpr6
                                        ; implicit-def: $vgpr1
	s_and_saveexec_b32 s1, s0
	s_wait_alu 0xfffe
	s_xor_b32 s0, exec_lo, s1
; %bb.9:
	v_add_nc_u32_e32 v5, 34, v0
	v_add_nc_u32_e32 v6, 0x44, v0
	;; [unrolled: 1-line block ×8, first 2 shown]
	s_mov_b64 s[2:3], 0
; %bb.10:
	s_wait_alu 0xfffe
	s_or_saveexec_b32 s1, s0
	v_lshlrev_b64_e32 v[3:4], 3, v[3:4]
	v_dual_mov_b32 v37, s3 :: v_dual_mov_b32 v36, s2
                                        ; implicit-def: $vgpr43
                                        ; implicit-def: $vgpr39
                                        ; implicit-def: $vgpr33
                                        ; implicit-def: $vgpr31
                                        ; implicit-def: $vgpr27
                                        ; implicit-def: $vgpr23
                                        ; implicit-def: $vgpr19
                                        ; implicit-def: $vgpr15
                                        ; implicit-def: $vgpr21
                                        ; implicit-def: $vgpr29
                                        ; implicit-def: $vgpr41
                                        ; implicit-def: $vgpr47
                                        ; implicit-def: $vgpr45
                                        ; implicit-def: $vgpr35
                                        ; implicit-def: $vgpr25
                                        ; implicit-def: $vgpr17
	s_wait_alu 0xfffe
	s_xor_b32 exec_lo, exec_lo, s1
	s_cbranch_execz .LBB0_12
; %bb.11:
	v_mad_co_u64_u32 v[5:6], null, s8, v0, 0
	v_mad_co_u64_u32 v[7:8], null, s8, v50, 0
	v_mad_co_u64_u32 v[9:10], null, s8, v54, 0
	v_mad_co_u64_u32 v[11:12], null, s8, v52, 0
	s_delay_alu instid0(VALU_DEP_4) | instskip(SKIP_3) | instid1(VALU_DEP_4)
	v_mov_b32_e32 v1, v6
	v_mad_co_u64_u32 v[19:20], null, s8, v53, 0
	v_mov_b32_e32 v6, v8
	v_add_co_u32 v57, s0, s10, v3
	v_mad_co_u64_u32 v[13:14], null, s9, v0, v[1:2]
	v_dual_mov_b32 v1, v10 :: v_dual_mov_b32 v10, v12
	s_delay_alu instid0(VALU_DEP_4) | instskip(SKIP_2) | instid1(VALU_DEP_3)
	v_mad_co_u64_u32 v[14:15], null, s9, v50, v[6:7]
	s_wait_alu 0xf1ff
	v_add_co_ci_u32_e64 v58, s0, s11, v4, s0
	v_mad_co_u64_u32 v[15:16], null, s9, v54, v[1:2]
	v_mov_b32_e32 v6, v13
	v_mad_co_u64_u32 v[12:13], null, s9, v52, v[10:11]
	v_mov_b32_e32 v8, v14
	;; [unrolled: 2-line block ×3, first 2 shown]
	v_mad_co_u64_u32 v[15:16], null, s8, v49, 0
	v_lshlrev_b64_e32 v[11:12], 3, v[11:12]
	v_add_nc_u32_e32 v59, 0x1fe, v0
	s_delay_alu instid0(VALU_DEP_4) | instskip(SKIP_4) | instid1(VALU_DEP_4)
	v_lshlrev_b64_e32 v[9:10], 3, v[9:10]
	v_mov_b32_e32 v1, v14
	v_lshlrev_b64_e32 v[5:6], 3, v[5:6]
	v_mov_b32_e32 v14, v16
	v_mad_co_u64_u32 v[44:45], null, s8, v59, 0
	v_mad_co_u64_u32 v[16:17], null, s9, v51, v[1:2]
	s_delay_alu instid0(VALU_DEP_3) | instskip(SKIP_3) | instid1(VALU_DEP_4)
	v_mad_co_u64_u32 v[17:18], null, s9, v49, v[14:15]
	v_add_co_u32 v5, s0, v57, v5
	s_wait_alu 0xf1ff
	v_add_co_ci_u32_e64 v6, s0, v58, v6, s0
	v_mov_b32_e32 v14, v16
	s_delay_alu instid0(VALU_DEP_4) | instskip(SKIP_1) | instid1(VALU_DEP_1)
	v_mov_b32_e32 v16, v17
	v_mad_co_u64_u32 v[17:18], null, s8, v48, 0
	v_mov_b32_e32 v1, v18
	v_lshlrev_b64_e32 v[7:8], 3, v[7:8]
	s_delay_alu instid0(VALU_DEP_1) | instskip(SKIP_1) | instid1(VALU_DEP_2)
	v_add_co_u32 v7, s0, v57, v7
	s_wait_alu 0xf1ff
	v_add_co_ci_u32_e64 v8, s0, v58, v8, s0
	v_add_co_u32 v9, s0, v57, v9
	s_wait_alu 0xf1ff
	v_add_co_ci_u32_e64 v10, s0, v58, v10, s0
	;; [unrolled: 3-line block ×3, first 2 shown]
	s_clause 0x3
	global_load_b64 v[36:37], v[5:6], off
	global_load_b64 v[42:43], v[7:8], off
	;; [unrolled: 1-line block ×4, first 2 shown]
	v_dual_mov_b32 v7, v20 :: v_dual_add_nc_u32 v8, 0x110, v0
	v_mad_co_u64_u32 v[11:12], null, s9, v48, v[1:2]
	v_lshlrev_b64_e32 v[5:6], 3, v[13:14]
	s_delay_alu instid0(VALU_DEP_3) | instskip(SKIP_1) | instid1(VALU_DEP_4)
	v_mad_co_u64_u32 v[12:13], null, s9, v53, v[7:8]
	v_mad_co_u64_u32 v[13:14], null, s8, v8, 0
	v_dual_mov_b32 v18, v11 :: v_dual_add_nc_u32 v7, 0x132, v0
	s_delay_alu instid0(VALU_DEP_4) | instskip(NEXT) | instid1(VALU_DEP_4)
	v_add_co_u32 v5, s0, v57, v5
	v_mov_b32_e32 v20, v12
	s_wait_alu 0xf1ff
	v_add_co_ci_u32_e64 v6, s0, v58, v6, s0
	v_mov_b32_e32 v1, v14
	v_lshlrev_b64_e32 v[9:10], 3, v[15:16]
	v_lshlrev_b64_e32 v[14:15], 3, v[19:20]
	v_mad_co_u64_u32 v[20:21], null, s8, v7, 0
	v_lshlrev_b64_e32 v[11:12], 3, v[17:18]
	v_mad_co_u64_u32 v[16:17], null, s9, v8, v[1:2]
	v_add_co_u32 v9, s0, v57, v9
	s_wait_alu 0xf1ff
	v_add_co_ci_u32_e64 v10, s0, v58, v10, s0
	s_delay_alu instid0(VALU_DEP_4)
	v_add_co_u32 v11, s0, v57, v11
	v_mov_b32_e32 v1, v21
	s_wait_alu 0xf1ff
	v_add_co_ci_u32_e64 v12, s0, v58, v12, s0
	v_add_co_u32 v17, s0, v57, v14
	s_wait_alu 0xf1ff
	v_add_co_ci_u32_e64 v18, s0, v58, v15, s0
	v_mad_co_u64_u32 v[21:22], null, s9, v7, v[1:2]
	v_mov_b32_e32 v14, v16
	s_clause 0x3
	global_load_b64 v[30:31], v[5:6], off
	global_load_b64 v[26:27], v[9:10], off
	global_load_b64 v[22:23], v[11:12], off
	global_load_b64 v[18:19], v[17:18], off
	v_add_nc_u32_e32 v17, 0x198, v0
	v_add_nc_u32_e32 v7, 0x176, v0
	v_lshlrev_b64_e32 v[5:6], 3, v[13:14]
	s_delay_alu instid0(VALU_DEP_3) | instskip(SKIP_1) | instid1(VALU_DEP_4)
	v_mad_co_u64_u32 v[28:29], null, s8, v17, 0
	v_add_nc_u32_e32 v24, 0x154, v0
	v_mad_co_u64_u32 v[9:10], null, s8, v7, 0
	s_delay_alu instid0(VALU_DEP_4) | instskip(NEXT) | instid1(VALU_DEP_3)
	v_add_co_u32 v5, s0, v57, v5
	v_mad_co_u64_u32 v[15:16], null, s8, v24, 0
	s_wait_alu 0xf1ff
	v_add_co_ci_u32_e64 v6, s0, v58, v6, s0
	s_delay_alu instid0(VALU_DEP_2) | instskip(NEXT) | instid1(VALU_DEP_1)
	v_mov_b32_e32 v1, v16
	v_mad_co_u64_u32 v[11:12], null, s9, v24, v[1:2]
	v_mov_b32_e32 v1, v10
	v_lshlrev_b64_e32 v[12:13], 3, v[20:21]
	s_delay_alu instid0(VALU_DEP_3) | instskip(NEXT) | instid1(VALU_DEP_3)
	v_mov_b32_e32 v16, v11
	v_mad_co_u64_u32 v[10:11], null, s9, v7, v[1:2]
	v_add_nc_u32_e32 v7, 0x1ba, v0
	s_delay_alu instid0(VALU_DEP_4)
	v_add_co_u32 v11, s0, v57, v12
	s_wait_alu 0xf1ff
	v_add_co_ci_u32_e64 v12, s0, v58, v13, s0
	v_lshlrev_b64_e32 v[13:14], 3, v[15:16]
	v_mov_b32_e32 v1, v29
	v_mad_co_u64_u32 v[34:35], null, s8, v7, 0
	v_add_nc_u32_e32 v15, 0x1dc, v0
	v_lshlrev_b64_e32 v[9:10], 3, v[9:10]
	v_add_co_u32 v20, s0, v57, v13
	s_wait_alu 0xf1ff
	v_add_co_ci_u32_e64 v21, s0, v58, v14, s0
	v_mad_co_u64_u32 v[13:14], null, s9, v17, v[1:2]
	v_mov_b32_e32 v1, v35
	v_mad_co_u64_u32 v[40:41], null, s8, v15, 0
	v_add_co_u32 v9, s0, v57, v9
	s_wait_alu 0xf1ff
	v_add_co_ci_u32_e64 v10, s0, v58, v10, s0
	v_mov_b32_e32 v29, v13
	v_mad_co_u64_u32 v[13:14], null, s9, v7, v[1:2]
	v_add_nc_u32_e32 v7, 0x220, v0
	v_mov_b32_e32 v1, v41
	s_delay_alu instid0(VALU_DEP_2) | instskip(NEXT) | instid1(VALU_DEP_2)
	v_mad_co_u64_u32 v[55:56], null, s8, v7, 0
	v_mad_co_u64_u32 v[46:47], null, s9, v15, v[1:2]
	v_mov_b32_e32 v1, v45
	s_clause 0x3
	global_load_b64 v[14:15], v[5:6], off
	global_load_b64 v[16:17], v[11:12], off
	;; [unrolled: 1-line block ×4, first 2 shown]
	v_mov_b32_e32 v35, v13
	v_lshlrev_b64_e32 v[5:6], 3, v[28:29]
	v_mad_co_u64_u32 v[9:10], null, s9, v59, v[1:2]
	v_mov_b32_e32 v1, v56
	v_mov_b32_e32 v41, v46
	v_lshlrev_b64_e32 v[10:11], 3, v[34:35]
	v_add_co_u32 v5, s0, v57, v5
	s_delay_alu instid0(VALU_DEP_4) | instskip(NEXT) | instid1(VALU_DEP_4)
	v_mad_co_u64_u32 v[12:13], null, s9, v7, v[1:2]
	v_lshlrev_b64_e32 v[28:29], 3, v[40:41]
	v_mov_b32_e32 v45, v9
	s_wait_alu 0xf1ff
	v_add_co_ci_u32_e64 v6, s0, v58, v6, s0
	v_add_co_u32 v9, s0, v57, v10
	v_mov_b32_e32 v56, v12
	s_wait_alu 0xf1ff
	v_add_co_ci_u32_e64 v10, s0, v58, v11, s0
	v_lshlrev_b64_e32 v[34:35], 3, v[44:45]
	v_add_co_u32 v11, s0, v57, v28
	s_wait_alu 0xf1ff
	v_add_co_ci_u32_e64 v12, s0, v58, v29, s0
	v_lshlrev_b64_e32 v[28:29], 3, v[55:56]
	s_delay_alu instid0(VALU_DEP_4) | instskip(SKIP_3) | instid1(VALU_DEP_4)
	v_add_co_u32 v44, s0, v57, v34
	s_wait_alu 0xf1ff
	v_add_co_ci_u32_e64 v45, s0, v58, v35, s0
	v_mov_b32_e32 v1, v53
	v_add_co_u32 v46, s0, v57, v28
	s_wait_alu 0xf1ff
	v_add_co_ci_u32_e64 v47, s0, v58, v29, s0
	s_clause 0x4
	global_load_b64 v[28:29], v[5:6], off
	global_load_b64 v[34:35], v[9:10], off
	;; [unrolled: 1-line block ×5, first 2 shown]
	v_dual_mov_b32 v6, v54 :: v_dual_mov_b32 v13, v48
	v_mov_b32_e32 v11, v49
	v_mov_b32_e32 v9, v51
	;; [unrolled: 1-line block ×4, first 2 shown]
.LBB0_12:
	s_or_b32 exec_lo, exec_lo, s1
	v_mul_hi_u32 v55, 0x24924925, v2
	s_wait_loadcnt 0x0
	v_sub_f32_e32 v58, v42, v46
	v_dual_add_f32 v10, v42, v36 :: v_dual_sub_f32 v57, v43, v47
	v_add_f32_e32 v12, v43, v37
	v_dual_add_f32 v56, v42, v46 :: v_dual_add_f32 v43, v43, v47
	s_delay_alu instid0(VALU_DEP_4)
	v_mul_f32_e32 v59, 0xbeb8f4ab, v58
	v_sub_nc_u32_e32 v66, v2, v55
	v_mul_f32_e32 v60, 0xbf2c7751, v57
	v_mul_f32_e32 v64, 0xbf7ee86f, v57
	v_sub_f32_e32 v84, v39, v45
	v_fma_f32 v68, 0x3f6eb680, v43, -v59
	v_dual_fmac_f32 v59, 0x3f6eb680, v43 :: v_dual_add_f32 v12, v39, v12
	v_mul_f32_e32 v61, 0xbf2c7751, v58
	v_lshrrev_b32_e32 v66, 1, v66
	v_mul_f32_e32 v42, 0xbeb8f4ab, v57
	s_delay_alu instid0(VALU_DEP_4) | instskip(SKIP_1) | instid1(VALU_DEP_4)
	v_dual_mul_f32 v63, 0xbf65296c, v58 :: v_dual_add_f32 v12, v33, v12
	v_mul_f32_e32 v65, 0xbf7ee86f, v58
	v_add_nc_u32_e32 v55, v66, v55
	s_delay_alu instid0(VALU_DEP_4) | instskip(NEXT) | instid1(VALU_DEP_4)
	v_dual_add_f32 v10, v38, v10 :: v_dual_fmamk_f32 v67, v56, 0x3f6eb680, v42
	v_add_f32_e32 v12, v31, v12
	v_fma_f32 v70, 0x3f3d2fb0, v43, -v61
	s_delay_alu instid0(VALU_DEP_3) | instskip(NEXT) | instid1(VALU_DEP_3)
	v_dual_fmac_f32 v61, 0x3f3d2fb0, v43 :: v_dual_add_f32 v10, v32, v10
	v_dual_fmamk_f32 v69, v56, 0x3f3d2fb0, v60 :: v_dual_add_f32 v12, v27, v12
	v_fma_f32 v72, 0x3ee437d1, v43, -v63
	s_delay_alu instid0(VALU_DEP_3)
	v_dual_fmac_f32 v63, 0x3ee437d1, v43 :: v_dual_add_f32 v10, v30, v10
	v_fmamk_f32 v73, v56, 0x3dbcf732, v64
	v_mul_f32_e32 v62, 0xbf65296c, v57
	v_add_f32_e32 v12, v23, v12
	v_add_f32_e32 v66, v67, v36
	v_dual_add_f32 v10, v26, v10 :: v_dual_add_f32 v67, v68, v37
	v_fma_f32 v42, 0x3f6eb680, v56, -v42
	v_lshrrev_b32_e32 v55, 2, v55
	v_add_f32_e32 v12, v19, v12
	s_delay_alu instid0(VALU_DEP_4) | instskip(NEXT) | instid1(VALU_DEP_4)
	v_dual_add_f32 v10, v22, v10 :: v_dual_add_f32 v59, v59, v37
	v_add_f32_e32 v68, v42, v36
	s_delay_alu instid0(VALU_DEP_4) | instskip(NEXT) | instid1(VALU_DEP_3)
	v_mul_lo_u32 v42, v55, 7
	v_dual_add_f32 v55, v69, v36 :: v_dual_add_f32 v10, v18, v10
	v_add_f32_e32 v61, v61, v37
	v_dual_add_f32 v69, v70, v37 :: v_dual_add_f32 v12, v15, v12
	v_fma_f32 v60, 0x3f3d2fb0, v56, -v60
	s_delay_alu instid0(VALU_DEP_4)
	v_add_f32_e32 v10, v14, v10
	v_sub_nc_u32_e32 v2, v2, v42
	v_mul_f32_e32 v74, 0xbf4c4adb, v57
	v_add_f32_e32 v12, v17, v12
	v_add_f32_e32 v60, v60, v36
	;; [unrolled: 1-line block ×3, first 2 shown]
	v_cmp_gt_u32_e64 s0, 17, v0
	v_fmamk_f32 v76, v56, 0xbf1a4643, v74
	v_fma_f32 v74, 0xbf1a4643, v56, -v74
	v_mul_f32_e32 v77, 0xbf4c4adb, v58
	v_dual_add_f32 v10, v20, v10 :: v_dual_mul_f32 v79, 0xbf06c442, v57
	v_dual_add_f32 v39, v39, v45 :: v_dual_add_f32 v86, v38, v44
	s_delay_alu instid0(VALU_DEP_3) | instskip(NEXT) | instid1(VALU_DEP_3)
	v_fma_f32 v78, 0xbf1a4643, v43, -v77
	v_dual_add_f32 v10, v24, v10 :: v_dual_fmac_f32 v77, 0xbf1a4643, v43
	s_delay_alu instid0(VALU_DEP_4) | instskip(SKIP_1) | instid1(VALU_DEP_4)
	v_fmamk_f32 v81, v56, 0xbf59a7d5, v79
	v_fma_f32 v79, 0xbf59a7d5, v56, -v79
	v_add_f32_e32 v78, v78, v37
	s_delay_alu instid0(VALU_DEP_4) | instskip(NEXT) | instid1(VALU_DEP_4)
	v_dual_add_f32 v10, v28, v10 :: v_dual_add_f32 v77, v77, v37
	v_add_f32_e32 v81, v81, v36
	s_delay_alu instid0(VALU_DEP_4) | instskip(NEXT) | instid1(VALU_DEP_3)
	v_add_f32_e32 v79, v79, v36
	v_dual_mul_f32 v87, 0xbf2c7751, v84 :: v_dual_add_f32 v10, v34, v10
	s_delay_alu instid0(VALU_DEP_1) | instskip(NEXT) | instid1(VALU_DEP_1)
	v_add_f32_e32 v10, v40, v10
	v_add_f32_e32 v42, v44, v10
	v_mul_u32_u24_e32 v10, 0x242, v2
	s_delay_alu instid0(VALU_DEP_2) | instskip(SKIP_2) | instid1(VALU_DEP_1)
	v_add_f32_e32 v2, v46, v42
	v_fma_f32 v46, 0x3dbcf732, v43, -v65
	v_dual_fmac_f32 v65, 0x3dbcf732, v43 :: v_dual_add_f32 v12, v21, v12
	v_add_f32_e32 v65, v65, v37
	s_delay_alu instid0(VALU_DEP_2) | instskip(NEXT) | instid1(VALU_DEP_1)
	v_add_f32_e32 v12, v25, v12
	v_add_f32_e32 v12, v29, v12
	s_delay_alu instid0(VALU_DEP_1) | instskip(NEXT) | instid1(VALU_DEP_1)
	v_add_f32_e32 v12, v35, v12
	v_add_f32_e32 v12, v41, v12
	s_delay_alu instid0(VALU_DEP_1) | instskip(NEXT) | instid1(VALU_DEP_1)
	v_add_f32_e32 v12, v45, v12
	v_add_f32_e32 v42, v47, v12
	;; [unrolled: 1-line block ×3, first 2 shown]
	v_mul_f32_e32 v47, 0xbf763a35, v57
	v_add_f32_e32 v63, v73, v36
	v_fmamk_f32 v71, v56, 0x3ee437d1, v62
	v_mul_f32_e32 v73, 0xbf763a35, v58
	v_fma_f32 v62, 0x3ee437d1, v56, -v62
	v_mul_f32_e32 v57, 0xbe3c28d5, v57
	v_mul_f32_e32 v80, 0xbf06c442, v58
	v_dual_add_f32 v70, v71, v36 :: v_dual_add_f32 v71, v72, v37
	v_fmamk_f32 v72, v56, 0xbe8c1d8e, v47
	v_fma_f32 v75, 0xbe8c1d8e, v43, -v73
	v_fma_f32 v47, 0xbe8c1d8e, v56, -v47
	v_fmac_f32_e32 v73, 0xbe8c1d8e, v43
	v_mul_f32_e32 v58, 0xbe3c28d5, v58
	v_fma_f32 v82, 0xbf59a7d5, v43, -v80
	v_add_f32_e32 v75, v75, v37
	v_add_f32_e32 v47, v47, v36
	v_fma_f32 v64, 0x3dbcf732, v56, -v64
	v_sub_f32_e32 v38, v38, v44
	v_dual_add_f32 v62, v62, v36 :: v_dual_add_f32 v73, v73, v37
	v_fma_f32 v85, 0xbf7ba420, v43, -v58
	v_fmac_f32_e32 v58, 0xbf7ba420, v43
	s_delay_alu instid0(VALU_DEP_4)
	v_dual_mul_f32 v45, 0xbf2c7751, v38 :: v_dual_add_f32 v64, v64, v36
	v_fmac_f32_e32 v80, 0xbf59a7d5, v43
	v_dual_add_f32 v82, v82, v37 :: v_dual_fmamk_f32 v83, v56, 0xbf7ba420, v57
	v_fma_f32 v44, 0xbf7ba420, v56, -v57
	v_fmamk_f32 v43, v86, 0x3f3d2fb0, v87
	v_add_f32_e32 v46, v46, v37
	v_add_f32_e32 v80, v80, v37
	;; [unrolled: 1-line block ×4, first 2 shown]
	v_fma_f32 v58, 0x3f3d2fb0, v86, -v87
	v_add_f32_e32 v74, v74, v36
	v_add_f32_e32 v83, v83, v36
	v_mul_f32_e32 v57, 0xbf7ee86f, v84
	v_add_f32_e32 v72, v72, v36
	v_add_f32_e32 v58, v58, v68
	v_mul_f32_e32 v68, 0xbf4c4adb, v84
	v_add_f32_e32 v76, v76, v36
	v_add_f32_e32 v36, v44, v36
	v_fma_f32 v44, 0x3f3d2fb0, v39, -v45
	v_add_f32_e32 v43, v43, v66
	v_fmac_f32_e32 v45, 0x3f3d2fb0, v39
	v_mul_f32_e32 v66, 0xbf7ee86f, v38
	s_delay_alu instid0(VALU_DEP_4) | instskip(SKIP_1) | instid1(VALU_DEP_4)
	v_dual_mul_f32 v85, 0xbe3c28d5, v38 :: v_dual_add_f32 v44, v44, v67
	v_fmamk_f32 v67, v86, 0x3dbcf732, v57
	v_add_f32_e32 v45, v45, v59
	s_delay_alu instid0(VALU_DEP_4) | instskip(NEXT) | instid1(VALU_DEP_3)
	v_fma_f32 v59, 0x3dbcf732, v39, -v66
	v_add_f32_e32 v55, v67, v55
	v_fmamk_f32 v67, v86, 0xbf1a4643, v68
	v_fma_f32 v68, 0xbf1a4643, v86, -v68
	s_delay_alu instid0(VALU_DEP_4) | instskip(SKIP_2) | instid1(VALU_DEP_4)
	v_add_f32_e32 v59, v59, v69
	v_mul_f32_e32 v69, 0xbf4c4adb, v38
	v_fmac_f32_e32 v66, 0x3dbcf732, v39
	v_add_f32_e32 v62, v68, v62
	v_fma_f32 v68, 0xbf7ba420, v39, -v85
	v_fmac_f32_e32 v85, 0xbf7ba420, v39
	v_fma_f32 v57, 0x3dbcf732, v86, -v57
	s_delay_alu instid0(VALU_DEP_1) | instskip(SKIP_4) | instid1(VALU_DEP_3)
	v_dual_add_f32 v57, v57, v60 :: v_dual_add_f32 v60, v66, v61
	v_add_f32_e32 v66, v67, v70
	v_fma_f32 v67, 0xbf1a4643, v39, -v69
	v_fmac_f32_e32 v69, 0xbf1a4643, v39
	v_mul_f32_e32 v61, 0xbe3c28d5, v84
	v_add_f32_e32 v67, v67, v71
	v_mul_f32_e32 v71, 0x3f763a35, v84
	s_delay_alu instid0(VALU_DEP_3) | instskip(SKIP_1) | instid1(VALU_DEP_2)
	v_fmamk_f32 v70, v86, 0xbf7ba420, v61
	v_fma_f32 v61, 0xbf7ba420, v86, -v61
	v_dual_add_f32 v63, v70, v63 :: v_dual_mul_f32 v70, 0x3f06c442, v38
	s_delay_alu instid0(VALU_DEP_2) | instskip(SKIP_1) | instid1(VALU_DEP_3)
	v_add_f32_e32 v61, v61, v64
	v_add_f32_e32 v64, v85, v65
	v_fma_f32 v65, 0xbf59a7d5, v39, -v70
	v_fmac_f32_e32 v70, 0xbf59a7d5, v39
	s_delay_alu instid0(VALU_DEP_2) | instskip(SKIP_4) | instid1(VALU_DEP_3)
	v_add_f32_e32 v65, v65, v75
	v_dual_add_f32 v12, v69, v12 :: v_dual_mul_f32 v85, 0x3f65296c, v38
	v_dual_mul_f32 v69, 0x3f06c442, v84 :: v_dual_add_f32 v46, v68, v46
	v_mul_f32_e32 v75, 0x3f763a35, v38
	v_mul_f32_e32 v38, 0x3eb8f4ab, v38
	v_fmamk_f32 v68, v86, 0xbf59a7d5, v69
	v_fma_f32 v69, 0xbf59a7d5, v86, -v69
	s_delay_alu instid0(VALU_DEP_2) | instskip(NEXT) | instid1(VALU_DEP_2)
	v_add_f32_e32 v68, v68, v72
	v_dual_fmamk_f32 v72, v86, 0xbe8c1d8e, v71 :: v_dual_add_f32 v47, v69, v47
	v_dual_add_f32 v69, v70, v73 :: v_dual_mul_f32 v70, 0x3f65296c, v84
	v_fma_f32 v73, 0xbe8c1d8e, v39, -v75
	s_delay_alu instid0(VALU_DEP_3)
	v_add_f32_e32 v72, v72, v76
	v_fma_f32 v71, 0xbe8c1d8e, v86, -v71
	v_fmac_f32_e32 v75, 0xbe8c1d8e, v39
	v_fmamk_f32 v76, v86, 0x3ee437d1, v70
	v_fma_f32 v70, 0x3ee437d1, v86, -v70
	v_add_f32_e32 v73, v73, v78
	v_add_f32_e32 v71, v71, v74
	;; [unrolled: 1-line block ×4, first 2 shown]
	v_fma_f32 v76, 0x3ee437d1, v39, -v85
	v_fmac_f32_e32 v85, 0x3ee437d1, v39
	v_fma_f32 v81, 0x3f6eb680, v39, -v38
	v_dual_mul_f32 v77, 0x3eb8f4ab, v84 :: v_dual_add_f32 v70, v70, v79
	s_delay_alu instid0(VALU_DEP_3)
	v_dual_fmac_f32 v38, 0x3f6eb680, v39 :: v_dual_add_f32 v79, v85, v80
	v_sub_f32_e32 v80, v33, v41
	v_add_f32_e32 v33, v33, v41
	v_add_f32_e32 v56, v81, v56
	v_add_f32_e32 v81, v32, v40
	v_sub_f32_e32 v32, v32, v40
	v_fmamk_f32 v78, v86, 0x3f6eb680, v77
	v_mul_f32_e32 v40, 0xbf65296c, v80
	v_fma_f32 v77, 0x3f6eb680, v86, -v77
	v_add_f32_e32 v37, v38, v37
	v_mul_f32_e32 v39, 0xbf65296c, v32
	v_mul_f32_e32 v38, 0xbf4c4adb, v80
	v_fmamk_f32 v41, v81, 0x3ee437d1, v40
	v_add_f32_e32 v36, v77, v36
	v_add_f32_e32 v76, v76, v82
	v_fma_f32 v77, 0x3ee437d1, v33, -v39
	v_fma_f32 v40, 0x3ee437d1, v81, -v40
	v_add_f32_e32 v41, v41, v43
	v_fmamk_f32 v43, v81, 0xbf1a4643, v38
	s_delay_alu instid0(VALU_DEP_4) | instskip(NEXT) | instid1(VALU_DEP_4)
	v_dual_fmac_f32 v39, 0x3ee437d1, v33 :: v_dual_add_f32 v44, v77, v44
	v_dual_mul_f32 v77, 0xbf4c4adb, v32 :: v_dual_add_f32 v40, v40, v58
	s_delay_alu instid0(VALU_DEP_3) | instskip(NEXT) | instid1(VALU_DEP_3)
	v_dual_add_f32 v43, v43, v55 :: v_dual_mul_f32 v58, 0x3e3c28d5, v32
	v_add_f32_e32 v39, v39, v45
	s_delay_alu instid0(VALU_DEP_3) | instskip(SKIP_2) | instid1(VALU_DEP_3)
	v_fma_f32 v55, 0xbf1a4643, v33, -v77
	v_fma_f32 v38, 0xbf1a4643, v81, -v38
	v_fmac_f32_e32 v77, 0xbf1a4643, v33
	v_add_f32_e32 v55, v55, v59
	v_fma_f32 v59, 0xbf7ba420, v33, -v58
	s_delay_alu instid0(VALU_DEP_1) | instskip(SKIP_2) | instid1(VALU_DEP_2)
	v_add_f32_e32 v59, v59, v67
	v_dual_mul_f32 v45, 0x3e3c28d5, v80 :: v_dual_add_f32 v38, v38, v57
	v_add_f32_e32 v57, v77, v60
	v_fmamk_f32 v82, v81, 0xbf7ba420, v45
	v_fma_f32 v45, 0xbf7ba420, v81, -v45
	s_delay_alu instid0(VALU_DEP_2) | instskip(NEXT) | instid1(VALU_DEP_2)
	v_add_f32_e32 v60, v82, v66
	v_dual_mul_f32 v66, 0x3f763a35, v80 :: v_dual_add_f32 v45, v45, v62
	s_delay_alu instid0(VALU_DEP_1) | instskip(SKIP_2) | instid1(VALU_DEP_3)
	v_dual_fmamk_f32 v77, v81, 0xbe8c1d8e, v66 :: v_dual_add_f32 v78, v78, v83
	v_mul_f32_e32 v67, 0x3f763a35, v32
	v_fma_f32 v66, 0xbe8c1d8e, v81, -v66
	v_add_f32_e32 v63, v77, v63
	s_delay_alu instid0(VALU_DEP_3) | instskip(SKIP_1) | instid1(VALU_DEP_4)
	v_fma_f32 v62, 0xbe8c1d8e, v33, -v67
	v_fmac_f32_e32 v67, 0xbe8c1d8e, v33
	v_add_f32_e32 v61, v66, v61
	s_delay_alu instid0(VALU_DEP_3) | instskip(NEXT) | instid1(VALU_DEP_3)
	v_add_f32_e32 v46, v62, v46
	v_add_f32_e32 v64, v67, v64
	v_mul_f32_e32 v67, 0xbeb8f4ab, v80
	v_mul_f32_e32 v62, 0x3f2c7751, v32
	s_delay_alu instid0(VALU_DEP_2) | instskip(SKIP_1) | instid1(VALU_DEP_1)
	v_fmamk_f32 v82, v81, 0x3f6eb680, v67
	v_fma_f32 v67, 0x3f6eb680, v81, -v67
	v_dual_add_f32 v67, v67, v71 :: v_dual_fmac_f32 v58, 0xbf7ba420, v33
	s_delay_alu instid0(VALU_DEP_1) | instskip(SKIP_1) | instid1(VALU_DEP_1)
	v_add_f32_e32 v12, v58, v12
	v_mul_f32_e32 v58, 0x3f2c7751, v80
	v_fmamk_f32 v77, v81, 0x3f3d2fb0, v58
	v_fma_f32 v58, 0x3f3d2fb0, v81, -v58
	s_delay_alu instid0(VALU_DEP_2) | instskip(SKIP_4) | instid1(VALU_DEP_4)
	v_add_f32_e32 v66, v77, v68
	v_fma_f32 v68, 0x3f3d2fb0, v33, -v62
	v_fmac_f32_e32 v62, 0x3f3d2fb0, v33
	v_mul_f32_e32 v77, 0xbeb8f4ab, v32
	v_add_f32_e32 v47, v58, v47
	v_add_f32_e32 v65, v68, v65
	s_delay_alu instid0(VALU_DEP_4) | instskip(NEXT) | instid1(VALU_DEP_4)
	v_add_f32_e32 v58, v62, v69
	v_fma_f32 v62, 0x3f6eb680, v33, -v77
	v_mul_f32_e32 v69, 0xbf7ee86f, v80
	v_dual_fmac_f32 v77, 0x3f6eb680, v33 :: v_dual_add_f32 v68, v82, v72
	v_mul_f32_e32 v72, 0xbf7ee86f, v32
	s_delay_alu instid0(VALU_DEP_3) | instskip(NEXT) | instid1(VALU_DEP_3)
	v_dual_add_f32 v62, v62, v73 :: v_dual_fmamk_f32 v73, v81, 0x3dbcf732, v69
	v_dual_add_f32 v71, v77, v74 :: v_dual_mul_f32 v74, 0xbf06c442, v80
	s_delay_alu instid0(VALU_DEP_3) | instskip(SKIP_1) | instid1(VALU_DEP_4)
	v_fma_f32 v77, 0x3dbcf732, v33, -v72
	v_fma_f32 v69, 0x3dbcf732, v81, -v69
	v_dual_add_f32 v73, v73, v75 :: v_dual_fmac_f32 v72, 0x3dbcf732, v33
	s_delay_alu instid0(VALU_DEP_4) | instskip(NEXT) | instid1(VALU_DEP_3)
	v_fmamk_f32 v75, v81, 0xbf59a7d5, v74
	v_dual_mul_f32 v32, 0xbf06c442, v32 :: v_dual_add_f32 v69, v69, v70
	v_fma_f32 v74, 0xbf59a7d5, v81, -v74
	s_delay_alu instid0(VALU_DEP_4) | instskip(NEXT) | instid1(VALU_DEP_4)
	v_add_f32_e32 v70, v72, v79
	v_add_f32_e32 v72, v75, v78
	v_dual_sub_f32 v75, v31, v35 :: v_dual_sub_f32 v78, v30, v34
	v_add_f32_e32 v76, v77, v76
	v_fma_f32 v77, 0xbf59a7d5, v33, -v32
	v_dual_fmac_f32 v32, 0xbf59a7d5, v33 :: v_dual_add_f32 v31, v31, v35
	v_add_f32_e32 v30, v30, v34
	v_dual_mul_f32 v34, 0xbf7ee86f, v75 :: v_dual_mul_f32 v33, 0xbf7ee86f, v78
	s_delay_alu instid0(VALU_DEP_4) | instskip(SKIP_2) | instid1(VALU_DEP_4)
	v_add_f32_e32 v35, v77, v56
	v_add_f32_e32 v36, v74, v36
	;; [unrolled: 1-line block ×3, first 2 shown]
	v_fmamk_f32 v56, v30, 0x3dbcf732, v34
	v_fma_f32 v37, 0x3dbcf732, v31, -v33
	v_mul_f32_e32 v74, 0xbe3c28d5, v75
	v_fma_f32 v34, 0x3dbcf732, v30, -v34
	v_fmac_f32_e32 v33, 0x3dbcf732, v31
	v_add_f32_e32 v41, v56, v41
	s_delay_alu instid0(VALU_DEP_4) | instskip(SKIP_1) | instid1(VALU_DEP_4)
	v_dual_add_f32 v37, v37, v44 :: v_dual_fmamk_f32 v44, v30, 0xbf7ba420, v74
	v_mul_f32_e32 v56, 0xbe3c28d5, v78
	v_dual_add_f32 v34, v34, v40 :: v_dual_add_f32 v33, v33, v39
	v_mul_f32_e32 v39, 0x3f763a35, v75
	s_delay_alu instid0(VALU_DEP_4) | instskip(NEXT) | instid1(VALU_DEP_4)
	v_add_f32_e32 v40, v44, v43
	v_fma_f32 v43, 0xbf7ba420, v31, -v56
	v_fma_f32 v44, 0xbf7ba420, v30, -v74
	v_fmac_f32_e32 v56, 0xbf7ba420, v31
	s_delay_alu instid0(VALU_DEP_2) | instskip(NEXT) | instid1(VALU_DEP_2)
	v_dual_add_f32 v43, v43, v55 :: v_dual_add_f32 v38, v44, v38
	v_dual_add_f32 v44, v56, v57 :: v_dual_mul_f32 v57, 0x3eb8f4ab, v75
	v_mul_f32_e32 v77, 0x3f763a35, v78
	s_delay_alu instid0(VALU_DEP_1) | instskip(SKIP_3) | instid1(VALU_DEP_2)
	v_fma_f32 v56, 0xbe8c1d8e, v31, -v77
	v_fmac_f32_e32 v77, 0xbe8c1d8e, v31
	v_fmamk_f32 v74, v30, 0xbe8c1d8e, v39
	v_fma_f32 v39, 0xbe8c1d8e, v30, -v39
	v_dual_add_f32 v55, v74, v60 :: v_dual_mul_f32 v60, 0x3eb8f4ab, v78
	s_delay_alu instid0(VALU_DEP_2) | instskip(NEXT) | instid1(VALU_DEP_2)
	v_dual_add_f32 v39, v39, v45 :: v_dual_mul_f32 v74, 0xbf65296c, v75
	v_fma_f32 v45, 0x3f6eb680, v31, -v60
	s_delay_alu instid0(VALU_DEP_1) | instskip(NEXT) | instid1(VALU_DEP_3)
	v_dual_fmac_f32 v60, 0x3f6eb680, v31 :: v_dual_add_f32 v45, v45, v46
	v_fmamk_f32 v46, v30, 0x3ee437d1, v74
	s_delay_alu instid0(VALU_DEP_2) | instskip(NEXT) | instid1(VALU_DEP_2)
	v_add_f32_e32 v60, v60, v64
	v_add_f32_e32 v46, v46, v66
	v_fma_f32 v66, 0x3ee437d1, v30, -v74
	s_delay_alu instid0(VALU_DEP_1) | instskip(SKIP_3) | instid1(VALU_DEP_2)
	v_add_f32_e32 v47, v66, v47
	v_mul_f32_e32 v66, 0x3f4c4adb, v75
	v_dual_add_f32 v56, v56, v59 :: v_dual_fmamk_f32 v59, v30, 0x3f6eb680, v57
	v_fma_f32 v57, 0x3f6eb680, v30, -v57
	v_add_f32_e32 v59, v59, v63
	v_mul_f32_e32 v63, 0xbf65296c, v78
	s_delay_alu instid0(VALU_DEP_3) | instskip(SKIP_1) | instid1(VALU_DEP_3)
	v_add_f32_e32 v57, v57, v61
	v_mul_f32_e32 v61, 0xbf06c442, v75
	v_fma_f32 v64, 0x3ee437d1, v31, -v63
	v_fmac_f32_e32 v63, 0x3ee437d1, v31
	s_delay_alu instid0(VALU_DEP_3) | instskip(SKIP_1) | instid1(VALU_DEP_4)
	v_fmamk_f32 v74, v30, 0xbf59a7d5, v61
	v_fma_f32 v61, 0xbf59a7d5, v30, -v61
	v_add_f32_e32 v64, v64, v65
	s_delay_alu instid0(VALU_DEP_3) | instskip(SKIP_4) | instid1(VALU_DEP_3)
	v_dual_add_f32 v58, v63, v58 :: v_dual_add_f32 v63, v74, v68
	v_mul_f32_e32 v74, 0x3f2c7751, v75
	v_dual_add_f32 v12, v77, v12 :: v_dual_mul_f32 v77, 0xbf06c442, v78
	v_dual_mul_f32 v68, 0x3f4c4adb, v78 :: v_dual_add_f32 v61, v61, v67
	v_mul_f32_e32 v75, 0x3f2c7751, v78
	v_fma_f32 v65, 0xbf59a7d5, v31, -v77
	s_delay_alu instid0(VALU_DEP_3) | instskip(NEXT) | instid1(VALU_DEP_2)
	v_fma_f32 v67, 0xbf1a4643, v31, -v68
	v_dual_fmac_f32 v77, 0xbf59a7d5, v31 :: v_dual_add_f32 v62, v65, v62
	v_fmamk_f32 v65, v30, 0xbf1a4643, v66
	v_fma_f32 v66, 0xbf1a4643, v30, -v66
	s_delay_alu instid0(VALU_DEP_4) | instskip(NEXT) | instid1(VALU_DEP_4)
	v_dual_fmac_f32 v68, 0xbf1a4643, v31 :: v_dual_add_f32 v67, v67, v76
	v_add_f32_e32 v71, v77, v71
	s_delay_alu instid0(VALU_DEP_4) | instskip(NEXT) | instid1(VALU_DEP_3)
	v_add_f32_e32 v65, v65, v73
	v_dual_fmamk_f32 v73, v30, 0x3f3d2fb0, v74 :: v_dual_add_f32 v68, v68, v70
	s_delay_alu instid0(VALU_DEP_1)
	v_add_f32_e32 v70, v73, v72
	v_add_f32_e32 v73, v26, v28
	v_add_f32_e32 v66, v66, v69
	v_dual_sub_f32 v69, v27, v29 :: v_dual_sub_f32 v26, v26, v28
	v_fma_f32 v72, 0x3f3d2fb0, v31, -v75
	v_fma_f32 v28, 0x3f3d2fb0, v30, -v74
	v_add_f32_e32 v27, v27, v29
	s_delay_alu instid0(VALU_DEP_4) | instskip(SKIP_3) | instid1(VALU_DEP_4)
	v_mul_f32_e32 v76, 0xbf763a35, v69
	v_mul_f32_e32 v30, 0xbf763a35, v26
	v_fmac_f32_e32 v75, 0x3f3d2fb0, v31
	v_add_f32_e32 v31, v72, v35
	v_dual_add_f32 v28, v28, v36 :: v_dual_fmamk_f32 v29, v73, 0xbe8c1d8e, v76
	s_delay_alu instid0(VALU_DEP_4) | instskip(SKIP_2) | instid1(VALU_DEP_4)
	v_fma_f32 v35, 0xbe8c1d8e, v27, -v30
	v_mul_f32_e32 v36, 0x3f06c442, v69
	v_fmac_f32_e32 v30, 0xbe8c1d8e, v27
	v_dual_mul_f32 v72, 0x3f06c442, v26 :: v_dual_add_f32 v29, v29, v41
	v_fma_f32 v41, 0xbe8c1d8e, v73, -v76
	v_add_f32_e32 v35, v35, v37
	s_delay_alu instid0(VALU_DEP_4) | instskip(NEXT) | instid1(VALU_DEP_4)
	v_dual_fmamk_f32 v37, v73, 0xbf59a7d5, v36 :: v_dual_add_f32 v30, v30, v33
	v_fma_f32 v33, 0xbf59a7d5, v27, -v72
	v_fma_f32 v36, 0xbf59a7d5, v73, -v36
	v_fmac_f32_e32 v72, 0xbf59a7d5, v27
	v_dual_add_f32 v34, v41, v34 :: v_dual_mul_f32 v41, 0x3f2c7751, v69
	s_delay_alu instid0(VALU_DEP_3) | instskip(NEXT) | instid1(VALU_DEP_3)
	v_dual_add_f32 v37, v37, v40 :: v_dual_add_f32 v36, v36, v38
	v_add_f32_e32 v38, v72, v44
	v_mul_f32_e32 v44, 0xbf65296c, v69
	s_delay_alu instid0(VALU_DEP_4) | instskip(SKIP_2) | instid1(VALU_DEP_4)
	v_fmamk_f32 v40, v73, 0x3f3d2fb0, v41
	v_fma_f32 v41, 0x3f3d2fb0, v73, -v41
	v_add_f32_e32 v33, v33, v43
	v_fmamk_f32 v72, v73, 0x3ee437d1, v44
	s_delay_alu instid0(VALU_DEP_4) | instskip(NEXT) | instid1(VALU_DEP_4)
	v_add_f32_e32 v40, v40, v55
	v_add_f32_e32 v39, v41, v39
	v_fma_f32 v44, 0x3ee437d1, v73, -v44
	s_delay_alu instid0(VALU_DEP_4) | instskip(SKIP_2) | instid1(VALU_DEP_4)
	v_add_f32_e32 v41, v72, v59
	v_mul_f32_e32 v43, 0x3f2c7751, v26
	v_mul_f32_e32 v74, 0xbf65296c, v26
	v_dual_mul_f32 v59, 0xbe3c28d5, v26 :: v_dual_add_f32 v44, v44, v57
	s_delay_alu instid0(VALU_DEP_3) | instskip(SKIP_1) | instid1(VALU_DEP_2)
	v_fma_f32 v55, 0x3f3d2fb0, v27, -v43
	v_fmac_f32_e32 v43, 0x3f3d2fb0, v27
	v_add_f32_e32 v55, v55, v56
	s_delay_alu instid0(VALU_DEP_2) | instskip(SKIP_3) | instid1(VALU_DEP_3)
	v_add_f32_e32 v12, v43, v12
	v_fma_f32 v43, 0x3ee437d1, v27, -v74
	v_mul_f32_e32 v56, 0xbe3c28d5, v69
	v_add_f32_e32 v32, v75, v32
	v_dual_fmac_f32 v74, 0x3ee437d1, v27 :: v_dual_add_f32 v43, v43, v45
	s_delay_alu instid0(VALU_DEP_3) | instskip(NEXT) | instid1(VALU_DEP_2)
	v_fmamk_f32 v45, v73, 0xbf7ba420, v56
	v_add_f32_e32 v57, v74, v60
	v_fma_f32 v60, 0xbf7ba420, v27, -v59
	v_fmac_f32_e32 v59, 0xbf7ba420, v27
	s_delay_alu instid0(VALU_DEP_4)
	v_add_f32_e32 v45, v45, v46
	v_fma_f32 v46, 0xbf7ba420, v73, -v56
	v_mul_f32_e32 v74, 0xbeb8f4ab, v26
	v_add_f32_e32 v56, v60, v64
	v_mul_f32_e32 v64, 0x3f7ee86f, v26
	v_mul_f32_e32 v26, 0xbf4c4adb, v26
	v_dual_add_f32 v46, v46, v47 :: v_dual_add_f32 v47, v59, v58
	v_mul_f32_e32 v72, 0x3f7ee86f, v69
	v_mul_f32_e32 v58, 0xbeb8f4ab, v69
	s_delay_alu instid0(VALU_DEP_2) | instskip(NEXT) | instid1(VALU_DEP_1)
	v_fmamk_f32 v60, v73, 0x3dbcf732, v72
	v_add_f32_e32 v59, v60, v63
	v_fma_f32 v63, 0x3dbcf732, v73, -v72
	s_delay_alu instid0(VALU_DEP_4)
	v_fmamk_f32 v72, v73, 0x3f6eb680, v58
	v_fma_f32 v60, 0x3dbcf732, v27, -v64
	v_fmac_f32_e32 v64, 0x3dbcf732, v27
	v_fma_f32 v58, 0x3f6eb680, v73, -v58
	v_add_f32_e32 v61, v63, v61
	v_add_f32_e32 v63, v72, v65
	v_mul_f32_e32 v65, 0xbf4c4adb, v69
	v_fma_f32 v69, 0xbf1a4643, v27, -v26
	v_add_f32_e32 v60, v60, v62
	v_fmac_f32_e32 v26, 0xbf1a4643, v27
	s_delay_alu instid0(VALU_DEP_3)
	v_add_f32_e32 v31, v69, v31
	v_add_f32_e32 v69, v22, v24
	v_sub_f32_e32 v22, v22, v24
	v_add_f32_e32 v62, v64, v71
	v_fma_f32 v64, 0x3f6eb680, v27, -v74
	v_fmac_f32_e32 v74, 0x3f6eb680, v27
	v_add_f32_e32 v58, v58, v66
	v_add_f32_e32 v26, v26, v32
	s_delay_alu instid0(VALU_DEP_4) | instskip(NEXT) | instid1(VALU_DEP_4)
	v_add_f32_e32 v64, v64, v67
	v_add_f32_e32 v66, v74, v68
	v_dual_sub_f32 v68, v23, v25 :: v_dual_fmamk_f32 v67, v73, 0xbf1a4643, v65
	v_fma_f32 v65, 0xbf1a4643, v73, -v65
	v_add_f32_e32 v23, v23, v25
	s_delay_alu instid0(VALU_DEP_3) | instskip(SKIP_1) | instid1(VALU_DEP_4)
	v_dual_mul_f32 v25, 0xbf4c4adb, v22 :: v_dual_mul_f32 v24, 0xbf4c4adb, v68
	v_mul_f32_e32 v32, 0x3f763a35, v68
	v_dual_add_f32 v28, v65, v28 :: v_dual_add_f32 v67, v67, v70
	s_delay_alu instid0(VALU_DEP_3) | instskip(NEXT) | instid1(VALU_DEP_4)
	v_fma_f32 v65, 0xbf1a4643, v23, -v25
	v_fmamk_f32 v27, v69, 0xbf1a4643, v24
	v_fmac_f32_e32 v25, 0xbf1a4643, v23
	v_fma_f32 v24, 0xbf1a4643, v69, -v24
	s_delay_alu instid0(VALU_DEP_4) | instskip(NEXT) | instid1(VALU_DEP_4)
	v_add_f32_e32 v35, v65, v35
	v_add_f32_e32 v27, v27, v29
	v_fmamk_f32 v29, v69, 0xbe8c1d8e, v32
	v_mul_f32_e32 v65, 0x3f763a35, v22
	v_dual_add_f32 v25, v25, v30 :: v_dual_mul_f32 v30, 0xbeb8f4ab, v68
	s_delay_alu instid0(VALU_DEP_3) | instskip(NEXT) | instid1(VALU_DEP_3)
	v_dual_add_f32 v24, v24, v34 :: v_dual_add_f32 v29, v29, v37
	v_fma_f32 v34, 0xbe8c1d8e, v23, -v65
	v_fma_f32 v32, 0xbe8c1d8e, v69, -v32
	v_fmac_f32_e32 v65, 0xbe8c1d8e, v23
	v_mul_f32_e32 v37, 0xbeb8f4ab, v22
	s_delay_alu instid0(VALU_DEP_4) | instskip(NEXT) | instid1(VALU_DEP_4)
	v_dual_fmamk_f32 v70, v69, 0x3f6eb680, v30 :: v_dual_add_f32 v33, v34, v33
	v_add_f32_e32 v32, v32, v36
	s_delay_alu instid0(VALU_DEP_4) | instskip(NEXT) | instid1(VALU_DEP_4)
	v_add_f32_e32 v34, v65, v38
	v_fma_f32 v36, 0x3f6eb680, v23, -v37
	s_delay_alu instid0(VALU_DEP_4) | instskip(SKIP_3) | instid1(VALU_DEP_3)
	v_add_f32_e32 v38, v70, v40
	v_mul_f32_e32 v40, 0xbf06c442, v68
	v_fmac_f32_e32 v37, 0x3f6eb680, v23
	v_fma_f32 v30, 0x3f6eb680, v69, -v30
	v_fmamk_f32 v65, v69, 0xbf59a7d5, v40
	s_delay_alu instid0(VALU_DEP_3) | instskip(NEXT) | instid1(VALU_DEP_3)
	v_add_f32_e32 v12, v37, v12
	v_dual_mul_f32 v37, 0x3f7ee86f, v68 :: v_dual_add_f32 v30, v30, v39
	v_fma_f32 v40, 0xbf59a7d5, v69, -v40
	s_delay_alu instid0(VALU_DEP_4) | instskip(NEXT) | instid1(VALU_DEP_3)
	v_add_f32_e32 v41, v65, v41
	v_dual_fmamk_f32 v65, v69, 0x3dbcf732, v37 :: v_dual_add_f32 v36, v36, v55
	s_delay_alu instid0(VALU_DEP_3) | instskip(SKIP_1) | instid1(VALU_DEP_3)
	v_dual_mul_f32 v55, 0xbf06c442, v22 :: v_dual_add_f32 v40, v40, v44
	v_fma_f32 v37, 0x3dbcf732, v69, -v37
	v_add_f32_e32 v45, v65, v45
	s_delay_alu instid0(VALU_DEP_3) | instskip(SKIP_1) | instid1(VALU_DEP_4)
	v_fma_f32 v39, 0xbf59a7d5, v23, -v55
	v_fmac_f32_e32 v55, 0xbf59a7d5, v23
	v_add_f32_e32 v37, v37, v46
	s_delay_alu instid0(VALU_DEP_3) | instskip(NEXT) | instid1(VALU_DEP_3)
	v_add_f32_e32 v39, v39, v43
	v_dual_mul_f32 v43, 0x3f7ee86f, v22 :: v_dual_add_f32 v44, v55, v57
	v_mul_f32_e32 v55, 0xbf2c7751, v68
	s_delay_alu instid0(VALU_DEP_2) | instskip(SKIP_2) | instid1(VALU_DEP_4)
	v_fma_f32 v57, 0x3dbcf732, v23, -v43
	v_fmac_f32_e32 v43, 0x3dbcf732, v23
	v_mul_f32_e32 v65, 0xbf2c7751, v22
	v_fmamk_f32 v70, v69, 0x3f3d2fb0, v55
	v_fma_f32 v55, 0x3f3d2fb0, v69, -v55
	s_delay_alu instid0(VALU_DEP_4) | instskip(NEXT) | instid1(VALU_DEP_4)
	v_dual_add_f32 v56, v57, v56 :: v_dual_add_f32 v43, v43, v47
	v_fma_f32 v46, 0x3f3d2fb0, v23, -v65
	s_delay_alu instid0(VALU_DEP_4) | instskip(SKIP_4) | instid1(VALU_DEP_4)
	v_add_f32_e32 v47, v70, v59
	v_fmac_f32_e32 v65, 0x3f3d2fb0, v23
	v_mul_f32_e32 v59, 0xbe3c28d5, v22
	v_mul_f32_e32 v57, 0xbe3c28d5, v68
	v_dual_add_f32 v55, v55, v61 :: v_dual_mul_f32 v22, 0x3f65296c, v22
	v_add_f32_e32 v61, v65, v62
	s_delay_alu instid0(VALU_DEP_4) | instskip(NEXT) | instid1(VALU_DEP_1)
	v_fma_f32 v65, 0xbf7ba420, v23, -v59
	v_dual_fmac_f32 v59, 0xbf7ba420, v23 :: v_dual_add_f32 v64, v65, v64
	s_delay_alu instid0(VALU_DEP_4)
	v_fma_f32 v65, 0x3ee437d1, v23, -v22
	v_add_f32_e32 v46, v46, v60
	v_fmamk_f32 v60, v69, 0xbf7ba420, v57
	v_fma_f32 v57, 0xbf7ba420, v69, -v57
	v_fmac_f32_e32 v22, 0x3ee437d1, v23
	v_add_f32_e32 v23, v65, v31
	s_delay_alu instid0(VALU_DEP_3) | instskip(SKIP_4) | instid1(VALU_DEP_2)
	v_add_f32_e32 v57, v57, v58
	v_add_f32_e32 v58, v59, v66
	v_sub_f32_e32 v66, v18, v20
	v_mul_f32_e32 v62, 0x3f65296c, v68
	v_add_f32_e32 v18, v18, v20
	v_dual_add_f32 v60, v60, v63 :: v_dual_fmamk_f32 v63, v69, 0x3ee437d1, v62
	s_delay_alu instid0(VALU_DEP_1) | instskip(SKIP_4) | instid1(VALU_DEP_4)
	v_add_f32_e32 v59, v63, v67
	v_sub_f32_e32 v63, v19, v21
	v_add_f32_e32 v19, v19, v21
	v_mul_f32_e32 v21, 0xbf06c442, v66
	v_add_f32_e32 v22, v22, v26
	v_mul_f32_e32 v20, 0xbf06c442, v63
	s_delay_alu instid0(VALU_DEP_3) | instskip(SKIP_1) | instid1(VALU_DEP_3)
	v_fma_f32 v26, 0xbf59a7d5, v19, -v21
	v_fmac_f32_e32 v21, 0xbf59a7d5, v19
	v_fmamk_f32 v31, v18, 0xbf59a7d5, v20
	s_delay_alu instid0(VALU_DEP_3) | instskip(SKIP_1) | instid1(VALU_DEP_3)
	v_dual_add_f32 v26, v26, v35 :: v_dual_mul_f32 v35, 0x3f65296c, v66
	v_fma_f32 v62, 0x3ee437d1, v69, -v62
	v_add_f32_e32 v27, v31, v27
	s_delay_alu instid0(VALU_DEP_2) | instskip(SKIP_1) | instid1(VALU_DEP_1)
	v_dual_add_f32 v21, v21, v25 :: v_dual_add_f32 v28, v62, v28
	v_mul_f32_e32 v62, 0x3f65296c, v63
	v_fmamk_f32 v31, v18, 0x3ee437d1, v62
	s_delay_alu instid0(VALU_DEP_1) | instskip(SKIP_4) | instid1(VALU_DEP_4)
	v_add_f32_e32 v25, v31, v29
	v_fma_f32 v29, 0x3ee437d1, v19, -v35
	v_mul_f32_e32 v65, 0xbf7ee86f, v66
	v_fma_f32 v31, 0x3ee437d1, v18, -v62
	v_fmac_f32_e32 v35, 0x3ee437d1, v19
	v_add_f32_e32 v29, v29, v33
	v_fma_f32 v20, 0xbf59a7d5, v18, -v20
	s_delay_alu instid0(VALU_DEP_4) | instskip(NEXT) | instid1(VALU_DEP_2)
	v_add_f32_e32 v31, v31, v32
	v_add_f32_e32 v20, v20, v24
	v_mul_f32_e32 v24, 0xbf7ee86f, v63
	s_delay_alu instid0(VALU_DEP_1) | instskip(SKIP_1) | instid1(VALU_DEP_2)
	v_fmamk_f32 v62, v18, 0x3dbcf732, v24
	v_fma_f32 v24, 0x3dbcf732, v18, -v24
	v_add_f32_e32 v33, v62, v38
	v_mul_f32_e32 v38, 0x3f4c4adb, v66
	s_delay_alu instid0(VALU_DEP_3)
	v_add_f32_e32 v24, v24, v30
	v_mul_f32_e32 v62, 0xbeb8f4ab, v63
	v_add_f32_e32 v32, v35, v34
	v_fma_f32 v34, 0x3dbcf732, v19, -v65
	v_fma_f32 v30, 0xbf1a4643, v19, -v38
	v_fmac_f32_e32 v65, 0x3dbcf732, v19
	v_mul_f32_e32 v35, 0x3f4c4adb, v63
	v_fmac_f32_e32 v38, 0xbf1a4643, v19
	v_add_f32_e32 v34, v34, v36
	v_add_f32_e32 v30, v30, v39
	v_dual_fmamk_f32 v39, v18, 0x3f6eb680, v62 :: v_dual_add_f32 v12, v65, v12
	s_delay_alu instid0(VALU_DEP_4) | instskip(NEXT) | instid1(VALU_DEP_2)
	v_dual_mul_f32 v65, 0xbe3c28d5, v66 :: v_dual_add_f32 v38, v38, v44
	v_add_f32_e32 v39, v39, v45
	v_fma_f32 v45, 0x3f6eb680, v18, -v62
	s_delay_alu instid0(VALU_DEP_1) | instskip(NEXT) | instid1(VALU_DEP_4)
	v_add_f32_e32 v37, v45, v37
	v_fma_f32 v45, 0xbf7ba420, v19, -v65
	v_fmac_f32_e32 v65, 0xbf7ba420, v19
	v_fmamk_f32 v36, v18, 0xbf1a4643, v35
	v_fma_f32 v35, 0xbf1a4643, v18, -v35
	s_delay_alu instid0(VALU_DEP_2) | instskip(SKIP_1) | instid1(VALU_DEP_3)
	v_dual_add_f32 v45, v45, v46 :: v_dual_add_f32 v36, v36, v41
	v_mul_f32_e32 v41, 0xbeb8f4ab, v66
	v_dual_add_f32 v35, v35, v40 :: v_dual_mul_f32 v40, 0xbe3c28d5, v63
	s_delay_alu instid0(VALU_DEP_2) | instskip(SKIP_1) | instid1(VALU_DEP_1)
	v_fma_f32 v44, 0x3f6eb680, v19, -v41
	v_fmac_f32_e32 v41, 0x3f6eb680, v19
	v_dual_fmamk_f32 v62, v18, 0xbf7ba420, v40 :: v_dual_add_f32 v41, v41, v43
	s_delay_alu instid0(VALU_DEP_1)
	v_add_f32_e32 v43, v62, v47
	v_mul_f32_e32 v47, 0x3f2c7751, v63
	v_mul_f32_e32 v62, 0xbf763a35, v63
	v_add_f32_e32 v44, v44, v56
	v_mul_f32_e32 v56, 0x3f2c7751, v66
	v_mul_f32_e32 v63, 0xbf763a35, v66
	v_fmamk_f32 v46, v18, 0x3f3d2fb0, v47
	v_fma_f32 v47, 0x3f3d2fb0, v18, -v47
	s_delay_alu instid0(VALU_DEP_1) | instskip(SKIP_2) | instid1(VALU_DEP_1)
	v_dual_add_f32 v46, v46, v60 :: v_dual_add_f32 v47, v47, v57
	v_sub_f32_e32 v57, v15, v17
	v_fma_f32 v40, 0xbf7ba420, v18, -v40
	v_dual_add_f32 v15, v15, v17 :: v_dual_add_f32 v40, v40, v55
	v_add_f32_e32 v55, v65, v61
	v_fma_f32 v61, 0x3f3d2fb0, v19, -v56
	v_fmac_f32_e32 v56, 0x3f3d2fb0, v19
	s_delay_alu instid0(VALU_DEP_2) | instskip(NEXT) | instid1(VALU_DEP_2)
	v_dual_add_f32 v60, v61, v64 :: v_dual_fmamk_f32 v61, v18, 0xbe8c1d8e, v62
	v_add_f32_e32 v56, v56, v58
	v_fma_f32 v18, 0xbe8c1d8e, v18, -v62
	s_delay_alu instid0(VALU_DEP_3) | instskip(SKIP_4) | instid1(VALU_DEP_4)
	v_dual_add_f32 v58, v61, v59 :: v_dual_add_f32 v61, v14, v16
	v_sub_f32_e32 v14, v14, v16
	v_mul_f32_e32 v16, 0xbe3c28d5, v57
	v_fma_f32 v59, 0xbe8c1d8e, v19, -v63
	v_fmac_f32_e32 v63, 0xbe8c1d8e, v19
	v_mul_f32_e32 v17, 0xbe3c28d5, v14
	s_delay_alu instid0(VALU_DEP_4) | instskip(NEXT) | instid1(VALU_DEP_4)
	v_fmamk_f32 v19, v61, 0xbf7ba420, v16
	v_add_f32_e32 v23, v59, v23
	s_delay_alu instid0(VALU_DEP_2) | instskip(SKIP_3) | instid1(VALU_DEP_3)
	v_add_f32_e32 v19, v19, v27
	v_dual_mul_f32 v27, 0x3eb8f4ab, v57 :: v_dual_add_f32 v18, v18, v28
	v_fma_f32 v28, 0xbf7ba420, v15, -v17
	v_fmac_f32_e32 v17, 0xbf7ba420, v15
	v_fmamk_f32 v59, v61, 0x3f6eb680, v27
	v_fma_f32 v27, 0x3f6eb680, v61, -v27
	s_delay_alu instid0(VALU_DEP_4) | instskip(NEXT) | instid1(VALU_DEP_4)
	v_add_f32_e32 v26, v28, v26
	v_dual_mul_f32 v28, 0x3eb8f4ab, v14 :: v_dual_add_f32 v21, v17, v21
	s_delay_alu instid0(VALU_DEP_4) | instskip(NEXT) | instid1(VALU_DEP_4)
	v_add_f32_e32 v25, v59, v25
	v_add_f32_e32 v27, v27, v31
	v_fma_f32 v16, 0xbf7ba420, v61, -v16
	s_delay_alu instid0(VALU_DEP_4) | instskip(SKIP_1) | instid1(VALU_DEP_3)
	v_fma_f32 v17, 0x3f6eb680, v15, -v28
	v_fmac_f32_e32 v28, 0x3f6eb680, v15
	v_add_f32_e32 v20, v16, v20
	s_delay_alu instid0(VALU_DEP_2) | instskip(NEXT) | instid1(VALU_DEP_4)
	v_dual_mul_f32 v16, 0xbf06c442, v57 :: v_dual_add_f32 v31, v28, v32
	v_dual_add_f32 v22, v63, v22 :: v_dual_add_f32 v29, v17, v29
	v_mul_f32_e32 v17, 0xbf06c442, v14
	s_delay_alu instid0(VALU_DEP_3) | instskip(SKIP_2) | instid1(VALU_DEP_3)
	v_fmamk_f32 v59, v61, 0xbf59a7d5, v16
	v_mul_f32_e32 v32, 0x3f2c7751, v57
	v_fma_f32 v16, 0xbf59a7d5, v61, -v16
	v_add_f32_e32 v28, v59, v33
	v_fma_f32 v33, 0xbf59a7d5, v15, -v17
	v_fmac_f32_e32 v17, 0xbf59a7d5, v15
	v_mul_f32_e32 v59, 0x3f2c7751, v14
	v_fmamk_f32 v62, v61, 0x3f3d2fb0, v32
	s_delay_alu instid0(VALU_DEP_4) | instskip(NEXT) | instid1(VALU_DEP_4)
	v_dual_add_f32 v24, v16, v24 :: v_dual_add_f32 v63, v33, v34
	v_dual_mul_f32 v33, 0x3f65296c, v57 :: v_dual_add_f32 v64, v17, v12
	s_delay_alu instid0(VALU_DEP_4)
	v_fma_f32 v12, 0x3f3d2fb0, v15, -v59
	v_fmac_f32_e32 v59, 0x3f3d2fb0, v15
	v_add_f32_e32 v17, v62, v36
	v_fma_f32 v16, 0x3f3d2fb0, v61, -v32
	v_mul_f32_e32 v36, 0xbf763a35, v14
	v_add_f32_e32 v62, v12, v30
	v_mul_f32_e32 v12, 0xbf4c4adb, v14
	s_delay_alu instid0(VALU_DEP_4) | instskip(NEXT) | instid1(VALU_DEP_2)
	v_add_f32_e32 v30, v16, v35
	v_fma_f32 v34, 0xbf1a4643, v15, -v12
	v_mul_f32_e32 v32, 0xbf4c4adb, v57
	s_delay_alu instid0(VALU_DEP_1) | instskip(NEXT) | instid1(VALU_DEP_1)
	v_fmamk_f32 v16, v61, 0xbf1a4643, v32
	v_add_f32_e32 v35, v16, v39
	s_delay_alu instid0(VALU_DEP_4)
	v_add_f32_e32 v39, v34, v44
	v_fma_f32 v32, 0xbf1a4643, v61, -v32
	v_mul_f32_e32 v34, 0x3f65296c, v14
	v_fmamk_f32 v16, v61, 0x3ee437d1, v33
	v_fma_f32 v33, 0x3ee437d1, v61, -v33
	v_fma_f32 v44, 0xbe8c1d8e, v15, -v36
	v_add_f32_e32 v32, v32, v37
	v_fma_f32 v37, 0x3ee437d1, v15, -v34
	v_fmac_f32_e32 v34, 0x3ee437d1, v15
	v_dual_fmac_f32 v36, 0xbe8c1d8e, v15 :: v_dual_add_f32 v33, v33, v40
	s_delay_alu instid0(VALU_DEP_3) | instskip(SKIP_1) | instid1(VALU_DEP_4)
	v_dual_add_f32 v38, v59, v38 :: v_dual_add_f32 v45, v37, v45
	v_fmac_f32_e32 v12, 0xbf1a4643, v15
	v_add_f32_e32 v40, v34, v55
	s_delay_alu instid0(VALU_DEP_2) | instskip(SKIP_2) | instid1(VALU_DEP_1)
	v_dual_mul_f32 v14, 0x3f7ee86f, v14 :: v_dual_add_f32 v41, v12, v41
	v_add_f32_e32 v12, v16, v43
	v_mul_f32_e32 v16, 0xbf763a35, v57
	v_fmamk_f32 v43, v61, 0xbe8c1d8e, v16
	v_fma_f32 v37, 0xbe8c1d8e, v61, -v16
	v_lshlrev_b32_e32 v16, 2, v10
	v_mul_f32_e32 v10, 0x3f7ee86f, v57
	s_delay_alu instid0(VALU_DEP_4) | instskip(NEXT) | instid1(VALU_DEP_3)
	v_dual_add_f32 v34, v43, v46 :: v_dual_add_f32 v43, v44, v60
	v_add_nc_u32_e32 v46, 0, v16
	v_add_f32_e32 v44, v36, v56
	s_delay_alu instid0(VALU_DEP_4)
	v_fmamk_f32 v36, v61, 0x3dbcf732, v10
	v_fma_f32 v10, 0x3dbcf732, v61, -v10
	v_add_f32_e32 v37, v37, v47
	v_mad_u32_u24 v55, 0x44, v0, v46
	v_fma_f32 v47, 0x3dbcf732, v15, -v14
	v_dual_fmac_f32 v14, 0x3dbcf732, v15 :: v_dual_add_f32 v15, v36, v58
	v_add_f32_e32 v10, v10, v18
	ds_store_2addr_b32 v55, v2, v19 offset1:1
	ds_store_2addr_b32 v55, v25, v28 offset0:2 offset1:3
	ds_store_2addr_b32 v55, v17, v35 offset0:4 offset1:5
	;; [unrolled: 1-line block ×7, first 2 shown]
	ds_store_b32 v55, v20 offset:64
	v_lshlrev_b32_e32 v10, 2, v0
	v_subrev_nc_u32_e32 v15, 17, v0
	v_lshl_add_u32 v12, v5, 2, v46
	v_add_f32_e32 v22, v14, v22
	v_lshl_add_u32 v14, v6, 2, v46
	v_add_nc_u32_e32 v2, v46, v10
	s_wait_alu 0xf1ff
	v_cndmask_b32_e64 v17, v15, v0, s0
	v_lshl_add_u32 v32, v7, 2, v46
	v_lshl_add_u32 v33, v9, 2, v46
	global_wb scope:SCOPE_SE
	s_wait_dscnt 0x0
	s_barrier_signal -1
	s_barrier_wait -1
	global_inv scope:SCOPE_SE
	v_lshl_add_u32 v35, v11, 2, v46
	v_lshl_add_u32 v36, v13, 2, v46
	;; [unrolled: 1-line block ×4, first 2 shown]
	ds_load_b32 v98, v2
	ds_load_b32 v56, v12
	;; [unrolled: 1-line block ×9, first 2 shown]
	v_dual_mov_b32 v19, 0 :: v_dual_lshlrev_b32 v18, 4, v17
	v_add3_u32 v10, 0, v10, v16
	v_add_f32_e32 v23, v47, v23
	v_lshlrev_b32_e32 v17, 2, v17
	s_delay_alu instid0(VALU_DEP_4) | instskip(NEXT) | instid1(VALU_DEP_4)
	v_lshlrev_b64_e32 v[18:19], 3, v[18:19]
	v_add_nc_u32_e32 v28, 0x400, v10
	v_add_nc_u32_e32 v30, 0x600, v10
	ds_load_2addr_b32 v[46:47], v28 offset0:50 offset1:84
	ds_load_2addr_b32 v[69:70], v28 offset0:118 offset1:152
	;; [unrolled: 1-line block ×4, first 2 shown]
	global_wb scope:SCOPE_SE
	s_wait_dscnt 0x0
	s_barrier_signal -1
	s_barrier_wait -1
	global_inv scope:SCOPE_SE
	ds_store_2addr_b32 v55, v42, v26 offset1:1
	ds_store_2addr_b32 v55, v29, v63 offset0:2 offset1:3
	ds_store_2addr_b32 v55, v62, v39 offset0:4 offset1:5
	ds_store_2addr_b32 v55, v45, v43 offset0:6 offset1:7
	v_add_co_u32 v26, s1, s4, v18
	s_wait_alu 0xf1ff
	v_add_co_ci_u32_e64 v27, s1, s5, v19, s1
	ds_store_2addr_b32 v55, v23, v22 offset0:8 offset1:9
	ds_store_2addr_b32 v55, v44, v40 offset0:10 offset1:11
	;; [unrolled: 1-line block ×4, first 2 shown]
	ds_store_b32 v55, v21 offset:64
	global_wb scope:SCOPE_SE
	s_wait_dscnt 0x0
	s_barrier_signal -1
	s_barrier_wait -1
	global_inv scope:SCOPE_SE
	s_clause 0x7
	global_load_b128 v[18:21], v[26:27], off
	global_load_b128 v[22:25], v[26:27], off offset:16
	global_load_b128 v[38:41], v[26:27], off offset:32
	global_load_b128 v[42:45], v[26:27], off offset:48
	global_load_b128 v[80:83], v[26:27], off offset:64
	global_load_b128 v[84:87], v[26:27], off offset:80
	global_load_b128 v[88:91], v[26:27], off offset:96
	global_load_b128 v[92:95], v[26:27], off offset:112
	ds_load_b32 v26, v12
	ds_load_b32 v27, v14
	;; [unrolled: 1-line block ×8, first 2 shown]
	v_cmp_lt_u32_e64 s1, 16, v0
	s_wait_loadcnt_dscnt 0x707
	v_mul_f32_e32 v78, v26, v19
	v_mul_f32_e32 v19, v56, v19
	s_wait_dscnt 0x6
	v_mul_f32_e32 v73, v27, v21
	v_mul_f32_e32 v21, v57, v21
	s_wait_loadcnt_dscnt 0x605
	v_dual_mul_f32 v67, v29, v23 :: v_dual_fmac_f32 v78, v56, v18
	v_fma_f32 v79, v26, v18, -v19
	v_dual_fmac_f32 v73, v57, v20 :: v_dual_mul_f32 v18, v58, v23
	v_fma_f32 v75, v27, v20, -v21
	s_delay_alu instid0(VALU_DEP_4)
	v_add_f32_e32 v21, v98, v78
	v_fmac_f32_e32 v67, v58, v22
	s_wait_dscnt 0x4
	v_mul_f32_e32 v63, v31, v25
	v_fma_f32 v68, v29, v22, -v18
	v_mul_f32_e32 v20, v59, v25
	s_wait_loadcnt_dscnt 0x503
	v_dual_add_f32 v22, v21, v73 :: v_dual_mul_f32 v61, v55, v39
	v_fmac_f32_e32 v63, v59, v24
	s_wait_dscnt 0x2
	v_mul_f32_e32 v57, v64, v41
	v_fma_f32 v66, v31, v24, -v20
	v_dual_add_f32 v24, v22, v67 :: v_dual_fmac_f32 v61, v60, v38
	v_mul_f32_e32 v23, v60, v39
	s_delay_alu instid0(VALU_DEP_4) | instskip(NEXT) | instid1(VALU_DEP_3)
	v_fmac_f32_e32 v57, v65, v40
	v_dual_mul_f32 v25, v65, v41 :: v_dual_add_f32 v24, v24, v63
	ds_load_b32 v26, v34
	v_fma_f32 v62, v55, v38, -v23
	s_wait_loadcnt_dscnt 0x402
	v_mul_f32_e32 v29, v99, v43
	v_fma_f32 v58, v64, v40, -v25
	v_add_f32_e32 v27, v24, v61
	v_dual_mul_f32 v25, v72, v43 :: v_dual_mul_f32 v40, v74, v45
	s_delay_alu instid0(VALU_DEP_4) | instskip(NEXT) | instid1(VALU_DEP_3)
	v_fmac_f32_e32 v29, v72, v42
	v_add_f32_e32 v27, v27, v57
	ds_load_2addr_b32 v[18:19], v28 offset0:50 offset1:84
	ds_load_2addr_b32 v[20:21], v28 offset0:118 offset1:152
	;; [unrolled: 1-line block ×3, first 2 shown]
	v_fma_f32 v31, v99, v42, -v25
	s_wait_loadcnt 0x3
	v_mul_f32_e32 v42, v47, v83
	v_add_f32_e32 v41, v27, v29
	s_wait_dscnt 0x2
	v_mul_f32_e32 v25, v18, v81
	ds_load_2addr_b32 v[38:39], v30 offset0:126 offset1:160
	v_mul_f32_e32 v55, v19, v83
	s_wait_loadcnt_dscnt 0x202
	v_mul_f32_e32 v59, v20, v85
	v_fma_f32 v56, v19, v82, -v42
	v_mul_f32_e32 v19, v69, v85
	v_mul_f32_e32 v24, v26, v45
	v_fma_f32 v26, v26, v44, -v40
	v_fmac_f32_e32 v59, v69, v84
	s_wait_loadcnt_dscnt 0x101
	v_mul_f32_e32 v69, v22, v89
	v_fma_f32 v60, v20, v84, -v19
	s_wait_loadcnt 0x0
	v_mul_f32_e32 v20, v97, v95
	v_dual_fmac_f32 v24, v74, v44 :: v_dual_mul_f32 v19, v76, v89
	v_dual_mul_f32 v40, v46, v81 :: v_dual_fmac_f32 v55, v47, v82
	v_dual_mul_f32 v64, v21, v87 :: v_dual_fmac_f32 v69, v76, v88
	v_fmac_f32_e32 v25, v46, v80
	global_wb scope:SCOPE_SE
	s_wait_dscnt 0x0
	s_barrier_signal -1
	v_dual_mul_f32 v81, v38, v93 :: v_dual_mul_f32 v82, v39, v95
	v_fma_f32 v76, v39, v94, -v20
	s_barrier_wait -1
	global_inv scope:SCOPE_SE
	v_fmac_f32_e32 v81, v96, v92
	v_fma_f32 v27, v18, v80, -v40
	v_add_f32_e32 v18, v41, v24
	v_fmac_f32_e32 v82, v97, v94
	v_sub_f32_e32 v20, v79, v76
	v_mul_f32_e32 v40, v70, v87
	v_fmac_f32_e32 v64, v70, v86
	v_fma_f32 v70, v22, v88, -v19
	v_dual_mul_f32 v19, v77, v91 :: v_dual_add_f32 v22, v78, v82
	v_dual_mul_f32 v39, 0xbeb8f4ab, v20 :: v_dual_mul_f32 v72, v23, v91
	v_add_f32_e32 v85, v73, v81
	s_delay_alu instid0(VALU_DEP_3)
	v_fma_f32 v74, v23, v90, -v19
	v_mul_f32_e32 v19, 0xbf2c7751, v20
	v_fma_f32 v65, v21, v86, -v40
	v_mul_f32_e32 v21, v96, v93
	v_add_f32_e32 v18, v18, v25
	v_fmac_f32_e32 v72, v77, v90
	s_delay_alu instid0(VALU_DEP_3) | instskip(NEXT) | instid1(VALU_DEP_1)
	v_fma_f32 v77, v38, v92, -v21
	v_sub_f32_e32 v80, v75, v77
	s_delay_alu instid0(VALU_DEP_1) | instskip(SKIP_4) | instid1(VALU_DEP_4)
	v_mul_f32_e32 v89, 0xbe3c28d5, v80
	v_fmamk_f32 v21, v22, 0x3f6eb680, v39
	v_fma_f32 v23, 0x3f6eb680, v22, -v39
	v_fmamk_f32 v39, v22, 0x3f3d2fb0, v19
	v_fma_f32 v19, 0x3f3d2fb0, v22, -v19
	v_add_f32_e32 v21, v98, v21
	s_delay_alu instid0(VALU_DEP_4) | instskip(NEXT) | instid1(VALU_DEP_4)
	v_add_f32_e32 v23, v98, v23
	v_add_f32_e32 v39, v98, v39
	v_dual_add_f32 v18, v18, v55 :: v_dual_mul_f32 v41, 0xbf7ee86f, v20
	v_mul_f32_e32 v47, 0xbf06c442, v20
	v_dual_mul_f32 v38, 0xbf65296c, v20 :: v_dual_add_f32 v19, v98, v19
	s_delay_alu instid0(VALU_DEP_3) | instskip(NEXT) | instid1(VALU_DEP_4)
	v_add_f32_e32 v18, v18, v59
	v_fmamk_f32 v43, v22, 0x3dbcf732, v41
	v_mul_f32_e32 v42, 0xbf763a35, v20
	v_fma_f32 v41, 0x3dbcf732, v22, -v41
	v_mul_f32_e32 v44, 0xbf4c4adb, v20
	v_fmamk_f32 v83, v22, 0xbf59a7d5, v47
	v_mul_f32_e32 v20, 0xbe3c28d5, v20
	v_fma_f32 v47, 0xbf59a7d5, v22, -v47
	v_add_f32_e32 v41, v98, v41
	v_fmamk_f32 v40, v22, 0x3ee437d1, v38
	v_fma_f32 v38, 0x3ee437d1, v22, -v38
	v_dual_mul_f32 v86, 0xbf2c7751, v80 :: v_dual_add_f32 v83, v98, v83
	v_fmamk_f32 v84, v22, 0xbf7ba420, v20
	v_add_f32_e32 v43, v98, v43
	s_delay_alu instid0(VALU_DEP_4)
	v_add_f32_e32 v38, v98, v38
	v_fmamk_f32 v45, v22, 0xbe8c1d8e, v42
	v_fma_f32 v42, 0xbe8c1d8e, v22, -v42
	v_fmamk_f32 v46, v22, 0xbf1a4643, v44
	v_fma_f32 v44, 0xbf1a4643, v22, -v44
	v_fma_f32 v20, 0xbf7ba420, v22, -v20
	v_add_f32_e32 v22, v98, v47
	v_dual_add_f32 v47, v98, v84 :: v_dual_fmamk_f32 v84, v85, 0x3f3d2fb0, v86
	v_add_f32_e32 v18, v18, v64
	v_mul_f32_e32 v87, 0xbf7ee86f, v80
	v_fma_f32 v86, 0x3f3d2fb0, v85, -v86
	s_delay_alu instid0(VALU_DEP_4) | instskip(NEXT) | instid1(VALU_DEP_4)
	v_dual_mul_f32 v88, 0xbf4c4adb, v80 :: v_dual_add_f32 v21, v84, v21
	v_add_f32_e32 v18, v18, v69
	s_delay_alu instid0(VALU_DEP_3) | instskip(NEXT) | instid1(VALU_DEP_3)
	v_dual_fmamk_f32 v84, v85, 0x3dbcf732, v87 :: v_dual_add_f32 v23, v86, v23
	v_fmamk_f32 v86, v85, 0xbf1a4643, v88
	v_fma_f32 v87, 0x3dbcf732, v85, -v87
	s_delay_alu instid0(VALU_DEP_3) | instskip(SKIP_3) | instid1(VALU_DEP_4)
	v_dual_add_f32 v18, v18, v72 :: v_dual_add_f32 v39, v84, v39
	v_fma_f32 v84, 0xbf1a4643, v85, -v88
	v_fma_f32 v88, 0xbf7ba420, v85, -v89
	v_add_f32_e32 v44, v98, v44
	v_dual_add_f32 v18, v18, v81 :: v_dual_add_f32 v19, v87, v19
	s_delay_alu instid0(VALU_DEP_4) | instskip(NEXT) | instid1(VALU_DEP_4)
	v_dual_add_f32 v38, v84, v38 :: v_dual_add_f32 v45, v98, v45
	v_dual_mul_f32 v84, 0x3f763a35, v80 :: v_dual_add_f32 v41, v88, v41
	s_delay_alu instid0(VALU_DEP_3) | instskip(NEXT) | instid1(VALU_DEP_2)
	v_dual_add_f32 v18, v18, v82 :: v_dual_mul_f32 v87, 0x3f06c442, v80
	v_fmamk_f32 v88, v85, 0xbe8c1d8e, v84
	v_fma_f32 v84, 0xbe8c1d8e, v85, -v84
	s_delay_alu instid0(VALU_DEP_1) | instskip(SKIP_3) | instid1(VALU_DEP_2)
	v_add_f32_e32 v44, v84, v44
	v_sub_f32_e32 v84, v68, v74
	v_add_f32_e32 v46, v98, v46
	v_add_f32_e32 v42, v98, v42
	;; [unrolled: 1-line block ×5, first 2 shown]
	s_delay_alu instid0(VALU_DEP_1) | instskip(SKIP_2) | instid1(VALU_DEP_2)
	v_add_f32_e32 v40, v86, v40
	v_fmamk_f32 v86, v85, 0xbf7ba420, v89
	v_mul_f32_e32 v89, 0x3f65296c, v80
	v_dual_add_f32 v43, v86, v43 :: v_dual_fmamk_f32 v86, v85, 0xbf59a7d5, v87
	v_fma_f32 v87, 0xbf59a7d5, v85, -v87
	s_delay_alu instid0(VALU_DEP_2) | instskip(NEXT) | instid1(VALU_DEP_4)
	v_dual_mul_f32 v80, 0x3eb8f4ab, v80 :: v_dual_add_f32 v45, v86, v45
	v_fmamk_f32 v86, v85, 0x3ee437d1, v89
	s_delay_alu instid0(VALU_DEP_1) | instskip(NEXT) | instid1(VALU_DEP_4)
	v_dual_add_f32 v83, v86, v83 :: v_dual_fmamk_f32 v86, v85, 0x3f6eb680, v80
	v_add_f32_e32 v42, v87, v42
	v_fma_f32 v87, 0x3ee437d1, v85, -v89
	v_mul_f32_e32 v89, 0xbf65296c, v84
	v_fma_f32 v80, 0x3f6eb680, v85, -v80
	v_add_f32_e32 v47, v86, v47
	s_delay_alu instid0(VALU_DEP_4) | instskip(NEXT) | instid1(VALU_DEP_4)
	v_dual_mul_f32 v85, 0xbf4c4adb, v84 :: v_dual_add_f32 v22, v87, v22
	v_fmamk_f32 v86, v88, 0x3ee437d1, v89
	v_fma_f32 v87, 0x3ee437d1, v88, -v89
	s_delay_alu instid0(VALU_DEP_3) | instskip(SKIP_1) | instid1(VALU_DEP_4)
	v_fmamk_f32 v89, v88, 0xbf1a4643, v85
	v_fma_f32 v85, 0xbf1a4643, v88, -v85
	v_add_f32_e32 v21, v86, v21
	s_delay_alu instid0(VALU_DEP_4) | instskip(SKIP_4) | instid1(VALU_DEP_1)
	v_add_f32_e32 v23, v87, v23
	v_mul_f32_e32 v87, 0x3f763a35, v84
	v_add_f32_e32 v39, v89, v39
	v_add_f32_e32 v19, v85, v19
	v_mul_f32_e32 v85, 0x3f2c7751, v84
	v_dual_add_f32 v20, v98, v20 :: v_dual_fmamk_f32 v89, v88, 0x3f3d2fb0, v85
	v_fma_f32 v85, 0x3f3d2fb0, v88, -v85
	s_delay_alu instid0(VALU_DEP_2) | instskip(NEXT) | instid1(VALU_DEP_3)
	v_add_f32_e32 v45, v89, v45
	v_dual_add_f32 v89, v63, v69 :: v_dual_add_f32 v20, v80, v20
	v_mul_f32_e32 v80, 0x3e3c28d5, v84
	s_delay_alu instid0(VALU_DEP_4) | instskip(NEXT) | instid1(VALU_DEP_2)
	v_dual_add_f32 v42, v85, v42 :: v_dual_mul_f32 v85, 0xbf7ee86f, v84
	v_fmamk_f32 v86, v88, 0xbf7ba420, v80
	v_fma_f32 v80, 0xbf7ba420, v88, -v80
	s_delay_alu instid0(VALU_DEP_2) | instskip(SKIP_1) | instid1(VALU_DEP_3)
	v_add_f32_e32 v40, v86, v40
	v_fmamk_f32 v86, v88, 0xbe8c1d8e, v87
	v_add_f32_e32 v38, v80, v38
	v_fma_f32 v80, 0xbe8c1d8e, v88, -v87
	v_mul_f32_e32 v87, 0xbeb8f4ab, v84
	s_delay_alu instid0(VALU_DEP_4) | instskip(NEXT) | instid1(VALU_DEP_3)
	v_add_f32_e32 v43, v86, v43
	v_add_f32_e32 v41, v80, v41
	s_delay_alu instid0(VALU_DEP_3) | instskip(SKIP_1) | instid1(VALU_DEP_2)
	v_fmamk_f32 v80, v88, 0x3f6eb680, v87
	v_fma_f32 v86, 0x3f6eb680, v88, -v87
	v_add_f32_e32 v46, v80, v46
	v_mul_f32_e32 v80, 0xbf06c442, v84
	v_sub_f32_e32 v84, v66, v70
	s_delay_alu instid0(VALU_DEP_4) | instskip(SKIP_2) | instid1(VALU_DEP_2)
	v_add_f32_e32 v44, v86, v44
	v_fmamk_f32 v86, v88, 0x3dbcf732, v85
	v_fma_f32 v85, 0x3dbcf732, v88, -v85
	v_dual_mul_f32 v90, 0xbf7ee86f, v84 :: v_dual_add_f32 v83, v86, v83
	s_delay_alu instid0(VALU_DEP_2) | instskip(SKIP_1) | instid1(VALU_DEP_3)
	v_add_f32_e32 v22, v85, v22
	v_mul_f32_e32 v86, 0xbe3c28d5, v84
	v_fmamk_f32 v85, v89, 0x3dbcf732, v90
	s_delay_alu instid0(VALU_DEP_1) | instskip(SKIP_4) | instid1(VALU_DEP_3)
	v_add_f32_e32 v21, v85, v21
	v_fmamk_f32 v87, v88, 0xbf59a7d5, v80
	v_fma_f32 v80, 0xbf59a7d5, v88, -v80
	v_fmamk_f32 v85, v89, 0xbf7ba420, v86
	v_fma_f32 v86, 0xbf7ba420, v89, -v86
	v_dual_add_f32 v47, v87, v47 :: v_dual_add_f32 v20, v80, v20
	v_fma_f32 v80, 0x3dbcf732, v89, -v90
	v_mul_f32_e32 v87, 0x3f763a35, v84
	s_delay_alu instid0(VALU_DEP_4) | instskip(SKIP_1) | instid1(VALU_DEP_3)
	v_dual_add_f32 v19, v86, v19 :: v_dual_mul_f32 v88, 0x3eb8f4ab, v84
	v_add_f32_e32 v39, v85, v39
	v_dual_add_f32 v23, v80, v23 :: v_dual_fmamk_f32 v80, v89, 0xbe8c1d8e, v87
	v_fma_f32 v85, 0xbe8c1d8e, v89, -v87
	s_delay_alu instid0(VALU_DEP_4) | instskip(SKIP_1) | instid1(VALU_DEP_4)
	v_fma_f32 v87, 0x3f6eb680, v89, -v88
	v_mul_f32_e32 v86, 0xbf65296c, v84
	v_add_f32_e32 v40, v80, v40
	s_delay_alu instid0(VALU_DEP_3) | instskip(SKIP_1) | instid1(VALU_DEP_1)
	v_dual_add_f32 v38, v85, v38 :: v_dual_add_f32 v41, v87, v41
	v_fmamk_f32 v80, v89, 0x3f6eb680, v88
	v_dual_add_f32 v43, v80, v43 :: v_dual_fmamk_f32 v80, v89, 0x3ee437d1, v86
	v_fma_f32 v86, 0x3ee437d1, v89, -v86
	s_delay_alu instid0(VALU_DEP_2) | instskip(SKIP_3) | instid1(VALU_DEP_3)
	v_add_f32_e32 v45, v80, v45
	v_mul_f32_e32 v85, 0xbf06c442, v84
	v_mul_f32_e32 v88, 0x3f4c4adb, v84
	;; [unrolled: 1-line block ×3, first 2 shown]
	v_fmamk_f32 v87, v89, 0xbf59a7d5, v85
	v_fma_f32 v80, 0xbf59a7d5, v89, -v85
	s_delay_alu instid0(VALU_DEP_1) | instskip(NEXT) | instid1(VALU_DEP_1)
	v_dual_fmamk_f32 v85, v89, 0xbf1a4643, v88 :: v_dual_add_f32 v44, v80, v44
	v_dual_sub_f32 v80, v62, v65 :: v_dual_add_f32 v83, v85, v83
	s_delay_alu instid0(VALU_DEP_4) | instskip(SKIP_2) | instid1(VALU_DEP_3)
	v_dual_fmamk_f32 v85, v89, 0x3f3d2fb0, v84 :: v_dual_add_f32 v46, v87, v46
	v_add_f32_e32 v87, v61, v64
	v_fma_f32 v84, 0x3f3d2fb0, v89, -v84
	v_add_f32_e32 v47, v85, v47
	v_dual_mul_f32 v85, 0x3f06c442, v80 :: v_dual_add_f32 v42, v86, v42
	v_fma_f32 v86, 0xbf1a4643, v89, -v88
	v_mul_f32_e32 v88, 0xbf763a35, v80
	s_delay_alu instid0(VALU_DEP_3) | instskip(SKIP_1) | instid1(VALU_DEP_4)
	v_fmamk_f32 v89, v87, 0xbf59a7d5, v85
	v_fma_f32 v85, 0xbf59a7d5, v87, -v85
	v_add_f32_e32 v22, v86, v22
	s_delay_alu instid0(VALU_DEP_4)
	v_fmamk_f32 v86, v87, 0xbe8c1d8e, v88
	v_fma_f32 v88, 0xbe8c1d8e, v87, -v88
	v_add_f32_e32 v39, v89, v39
	v_add_f32_e32 v19, v85, v19
	v_mul_f32_e32 v85, 0xbe3c28d5, v80
	v_add_f32_e32 v21, v86, v21
	v_dual_add_f32 v23, v88, v23 :: v_dual_mul_f32 v88, 0xbf65296c, v80
	s_delay_alu instid0(VALU_DEP_3) | instskip(SKIP_1) | instid1(VALU_DEP_2)
	v_fmamk_f32 v89, v87, 0xbf7ba420, v85
	v_fma_f32 v85, 0xbf7ba420, v87, -v85
	v_add_f32_e32 v45, v89, v45
	v_dual_add_f32 v89, v57, v59 :: v_dual_add_f32 v20, v84, v20
	v_mul_f32_e32 v84, 0x3f2c7751, v80
	s_delay_alu instid0(VALU_DEP_1) | instskip(SKIP_1) | instid1(VALU_DEP_1)
	v_fmamk_f32 v86, v87, 0x3f3d2fb0, v84
	v_fma_f32 v84, 0x3f3d2fb0, v87, -v84
	v_add_f32_e32 v38, v84, v38
	v_fma_f32 v84, 0x3ee437d1, v87, -v88
	s_delay_alu instid0(VALU_DEP_1) | instskip(SKIP_1) | instid1(VALU_DEP_1)
	v_dual_add_f32 v41, v84, v41 :: v_dual_add_f32 v40, v86, v40
	v_fmamk_f32 v86, v87, 0x3ee437d1, v88
	v_dual_mul_f32 v88, 0x3f7ee86f, v80 :: v_dual_add_f32 v43, v86, v43
	s_delay_alu instid0(VALU_DEP_1) | instskip(SKIP_1) | instid1(VALU_DEP_2)
	v_fmamk_f32 v84, v87, 0x3dbcf732, v88
	v_fma_f32 v86, 0x3dbcf732, v87, -v88
	v_add_f32_e32 v46, v84, v46
	v_sub_f32_e32 v84, v58, v60
	v_dual_add_f32 v42, v85, v42 :: v_dual_mul_f32 v85, 0xbeb8f4ab, v80
	s_delay_alu instid0(VALU_DEP_4) | instskip(NEXT) | instid1(VALU_DEP_3)
	v_add_f32_e32 v44, v86, v44
	v_mul_f32_e32 v90, 0xbf4c4adb, v84
	s_delay_alu instid0(VALU_DEP_3) | instskip(SKIP_1) | instid1(VALU_DEP_1)
	v_fmamk_f32 v86, v87, 0x3f6eb680, v85
	v_fma_f32 v85, 0x3f6eb680, v87, -v85
	v_dual_add_f32 v83, v86, v83 :: v_dual_add_f32 v22, v85, v22
	s_delay_alu instid0(VALU_DEP_4) | instskip(SKIP_1) | instid1(VALU_DEP_2)
	v_fmamk_f32 v85, v89, 0xbf1a4643, v90
	v_mul_f32_e32 v80, 0xbf4c4adb, v80
	v_dual_mul_f32 v86, 0x3f763a35, v84 :: v_dual_add_f32 v21, v85, v21
	s_delay_alu instid0(VALU_DEP_2) | instskip(SKIP_2) | instid1(VALU_DEP_4)
	v_fmamk_f32 v88, v87, 0xbf1a4643, v80
	v_fma_f32 v80, 0xbf1a4643, v87, -v80
	v_mul_f32_e32 v87, 0xbeb8f4ab, v84
	v_fmamk_f32 v85, v89, 0xbe8c1d8e, v86
	v_fma_f32 v86, 0xbe8c1d8e, v89, -v86
	v_add_f32_e32 v47, v88, v47
	v_add_f32_e32 v20, v80, v20
	v_fma_f32 v80, 0xbf1a4643, v89, -v90
	v_dual_mul_f32 v88, 0xbf06c442, v84 :: v_dual_add_f32 v39, v85, v39
	v_fma_f32 v85, 0x3f6eb680, v89, -v87
	v_add_f32_e32 v19, v86, v19
	s_delay_alu instid0(VALU_DEP_4) | instskip(NEXT) | instid1(VALU_DEP_4)
	v_dual_add_f32 v23, v80, v23 :: v_dual_fmamk_f32 v80, v89, 0x3f6eb680, v87
	v_fma_f32 v87, 0xbf59a7d5, v89, -v88
	s_delay_alu instid0(VALU_DEP_4) | instskip(NEXT) | instid1(VALU_DEP_2)
	v_dual_add_f32 v38, v85, v38 :: v_dual_mul_f32 v85, 0xbf2c7751, v84
	v_dual_mul_f32 v86, 0x3f7ee86f, v84 :: v_dual_add_f32 v41, v87, v41
	s_delay_alu instid0(VALU_DEP_2) | instskip(NEXT) | instid1(VALU_DEP_1)
	v_fmamk_f32 v87, v89, 0x3f3d2fb0, v85
	v_dual_add_f32 v46, v87, v46 :: v_dual_add_f32 v87, v29, v55
	v_add_f32_e32 v40, v80, v40
	v_fmamk_f32 v80, v89, 0xbf59a7d5, v88
	v_mul_f32_e32 v88, 0xbe3c28d5, v84
	s_delay_alu instid0(VALU_DEP_2) | instskip(SKIP_2) | instid1(VALU_DEP_2)
	v_dual_mul_f32 v84, 0x3f65296c, v84 :: v_dual_add_f32 v43, v80, v43
	v_fmamk_f32 v80, v89, 0x3dbcf732, v86
	v_fma_f32 v86, 0x3dbcf732, v89, -v86
	v_add_f32_e32 v45, v80, v45
	v_fma_f32 v80, 0x3f3d2fb0, v89, -v85
	s_delay_alu instid0(VALU_DEP_1) | instskip(NEXT) | instid1(VALU_DEP_1)
	v_dual_fmamk_f32 v85, v89, 0xbf7ba420, v88 :: v_dual_add_f32 v44, v80, v44
	v_dual_sub_f32 v80, v31, v56 :: v_dual_add_f32 v83, v85, v83
	v_dual_fmamk_f32 v85, v89, 0x3ee437d1, v84 :: v_dual_add_f32 v42, v86, v42
	v_fma_f32 v86, 0xbf7ba420, v89, -v88
	v_fma_f32 v84, 0x3ee437d1, v89, -v84
	s_delay_alu instid0(VALU_DEP_3) | instskip(NEXT) | instid1(VALU_DEP_3)
	v_add_f32_e32 v47, v85, v47
	v_dual_mul_f32 v85, 0x3f65296c, v80 :: v_dual_add_f32 v22, v86, v22
	s_delay_alu instid0(VALU_DEP_1) | instskip(SKIP_1) | instid1(VALU_DEP_2)
	v_fmamk_f32 v89, v87, 0x3ee437d1, v85
	v_fma_f32 v85, 0x3ee437d1, v87, -v85
	v_add_f32_e32 v39, v89, v39
	s_delay_alu instid0(VALU_DEP_2) | instskip(SKIP_2) | instid1(VALU_DEP_2)
	v_add_f32_e32 v19, v85, v19
	v_mul_f32_e32 v85, 0xbeb8f4ab, v80
	v_mul_f32_e32 v88, 0xbf06c442, v80
	v_fmamk_f32 v89, v87, 0x3f6eb680, v85
	s_delay_alu instid0(VALU_DEP_2) | instskip(SKIP_2) | instid1(VALU_DEP_4)
	v_fmamk_f32 v86, v87, 0xbf59a7d5, v88
	v_fma_f32 v88, 0xbf59a7d5, v87, -v88
	v_fma_f32 v85, 0x3f6eb680, v87, -v85
	v_add_f32_e32 v45, v89, v45
	v_add_f32_e32 v89, v24, v25
	;; [unrolled: 1-line block ×3, first 2 shown]
	v_dual_mul_f32 v84, 0xbf7ee86f, v80 :: v_dual_add_f32 v21, v86, v21
	v_dual_add_f32 v23, v88, v23 :: v_dual_mul_f32 v88, 0x3f4c4adb, v80
	v_add_f32_e32 v42, v85, v42
	s_delay_alu instid0(VALU_DEP_3) | instskip(SKIP_2) | instid1(VALU_DEP_3)
	v_fmamk_f32 v86, v87, 0x3dbcf732, v84
	v_fma_f32 v84, 0x3dbcf732, v87, -v84
	v_mul_f32_e32 v85, 0x3f2c7751, v80
	v_add_f32_e32 v40, v86, v40
	v_fmamk_f32 v86, v87, 0xbf1a4643, v88
	s_delay_alu instid0(VALU_DEP_4) | instskip(SKIP_1) | instid1(VALU_DEP_3)
	v_add_f32_e32 v84, v84, v38
	v_fma_f32 v38, 0xbf1a4643, v87, -v88
	v_dual_mul_f32 v88, 0xbe3c28d5, v80 :: v_dual_add_f32 v43, v86, v43
	s_delay_alu instid0(VALU_DEP_1) | instskip(SKIP_1) | instid1(VALU_DEP_2)
	v_dual_add_f32 v41, v38, v41 :: v_dual_fmamk_f32 v38, v87, 0xbf7ba420, v88
	v_fma_f32 v86, 0xbf7ba420, v87, -v88
	v_add_f32_e32 v46, v38, v46
	v_mul_f32_e32 v38, 0xbf763a35, v80
	v_sub_f32_e32 v80, v26, v27
	s_delay_alu instid0(VALU_DEP_4)
	v_add_f32_e32 v44, v86, v44
	v_fmamk_f32 v86, v87, 0x3f3d2fb0, v85
	v_fma_f32 v85, 0x3f3d2fb0, v87, -v85
	v_fmamk_f32 v88, v87, 0xbe8c1d8e, v38
	v_mul_f32_e32 v90, 0xbe3c28d5, v80
	v_fma_f32 v38, 0xbe8c1d8e, v87, -v38
	v_dual_add_f32 v83, v86, v83 :: v_dual_mul_f32 v86, 0x3eb8f4ab, v80
	s_delay_alu instid0(VALU_DEP_4) | instskip(NEXT) | instid1(VALU_DEP_4)
	v_add_f32_e32 v47, v88, v47
	v_fma_f32 v87, 0xbf7ba420, v89, -v90
	s_delay_alu instid0(VALU_DEP_4) | instskip(SKIP_1) | instid1(VALU_DEP_3)
	v_add_f32_e32 v20, v38, v20
	v_mul_f32_e32 v88, 0xbf06c442, v80
	v_dual_add_f32 v38, v87, v23 :: v_dual_mul_f32 v87, 0x3f2c7751, v80
	v_add_f32_e32 v22, v85, v22
	v_fmamk_f32 v85, v89, 0xbf7ba420, v90
	v_fma_f32 v23, 0x3f6eb680, v89, -v86
	s_delay_alu instid0(VALU_DEP_2) | instskip(SKIP_1) | instid1(VALU_DEP_3)
	v_add_f32_e32 v21, v85, v21
	v_fmamk_f32 v85, v89, 0x3f6eb680, v86
	v_dual_fmamk_f32 v86, v89, 0xbf59a7d5, v88 :: v_dual_add_f32 v19, v23, v19
	s_delay_alu instid0(VALU_DEP_2) | instskip(SKIP_1) | instid1(VALU_DEP_3)
	v_add_f32_e32 v39, v85, v39
	v_fma_f32 v85, 0xbf59a7d5, v89, -v88
	v_dual_add_f32 v23, v86, v40 :: v_dual_fmamk_f32 v40, v89, 0x3f3d2fb0, v87
	v_mul_f32_e32 v86, 0xbf4c4adb, v80
	v_fma_f32 v87, 0x3f3d2fb0, v89, -v87
	s_delay_alu instid0(VALU_DEP_4) | instskip(NEXT) | instid1(VALU_DEP_4)
	v_add_f32_e32 v84, v85, v84
	v_dual_mul_f32 v85, 0x3f65296c, v80 :: v_dual_add_f32 v40, v40, v43
	s_delay_alu instid0(VALU_DEP_4) | instskip(SKIP_1) | instid1(VALU_DEP_3)
	v_fmamk_f32 v43, v89, 0xbf1a4643, v86
	v_fma_f32 v86, 0xbf1a4643, v89, -v86
	v_dual_add_f32 v41, v87, v41 :: v_dual_fmamk_f32 v88, v89, 0x3ee437d1, v85
	v_fma_f32 v85, 0x3ee437d1, v89, -v85
	s_delay_alu instid0(VALU_DEP_3) | instskip(NEXT) | instid1(VALU_DEP_3)
	v_dual_add_f32 v43, v43, v45 :: v_dual_add_f32 v42, v86, v42
	v_dual_add_f32 v45, v88, v46 :: v_dual_mul_f32 v46, 0xbf763a35, v80
	s_delay_alu instid0(VALU_DEP_3)
	v_add_f32_e32 v44, v85, v44
	v_mul_f32_e32 v80, 0x3f7ee86f, v80
	s_wait_alu 0xf1ff
	v_cndmask_b32_e64 v85, 0, 0x484, s1
	v_fmamk_f32 v86, v89, 0xbe8c1d8e, v46
	v_fma_f32 v46, 0xbe8c1d8e, v89, -v46
	v_fmamk_f32 v87, v89, 0x3dbcf732, v80
	v_fma_f32 v80, 0x3dbcf732, v89, -v80
	v_add_nc_u32_e32 v85, 0, v85
	v_add_f32_e32 v83, v86, v83
	v_add_f32_e32 v22, v46, v22
	;; [unrolled: 1-line block ×4, first 2 shown]
	v_add3_u32 v80, v85, v17, v16
	ds_store_2addr_b32 v80, v18, v21 offset1:17
	ds_store_2addr_b32 v80, v39, v23 offset0:34 offset1:51
	ds_store_2addr_b32 v80, v40, v43 offset0:68 offset1:85
	ds_store_2addr_b32 v80, v45, v83 offset0:102 offset1:119
	ds_store_2addr_b32 v80, v46, v20 offset0:136 offset1:153
	ds_store_2addr_b32 v80, v22, v44 offset0:170 offset1:187
	ds_store_2addr_b32 v80, v42, v41 offset0:204 offset1:221
	ds_store_2addr_b32 v80, v84, v19 offset0:238 offset1:255
	ds_store_b32 v80, v38 offset:1088
	global_wb scope:SCOPE_SE
	s_wait_dscnt 0x0
	s_barrier_signal -1
	s_barrier_wait -1
	global_inv scope:SCOPE_SE
	ds_load_2addr_b32 v[16:17], v28 offset0:33 offset1:67
	ds_load_2addr_b32 v[18:19], v28 offset0:101 offset1:135
	ds_load_2addr_b32 v[20:21], v28 offset0:169 offset1:203
	ds_load_2addr_b32 v[22:23], v30 offset0:109 offset1:143
	ds_load_b32 v42, v2
	ds_load_b32 v41, v12
	;; [unrolled: 1-line block ×8, first 2 shown]
                                        ; implicit-def: $vgpr39
	s_and_saveexec_b32 s1, s0
	s_cbranch_execz .LBB0_14
; %bb.13:
	ds_load_b32 v38, v34
	ds_load_b32 v39, v10 offset:2244
.LBB0_14:
	s_wait_alu 0xfffe
	s_or_b32 exec_lo, exec_lo, s1
	v_dual_add_f32 v83, v71, v79 :: v_dual_sub_f32 v78, v78, v82
	v_add_f32_e32 v82, v75, v77
	v_add_f32_e32 v79, v79, v76
	v_sub_f32_e32 v67, v67, v72
	v_sub_f32_e32 v29, v29, v55
	global_wb scope:SCOPE_SE
	s_wait_dscnt 0x0
	v_dual_mul_f32 v90, 0x3dbcf732, v82 :: v_dual_sub_f32 v73, v73, v81
	v_mul_f32_e32 v84, 0x3ee437d1, v79
	v_mul_f32_e32 v81, 0x3f6eb680, v79
	v_dual_add_f32 v75, v83, v75 :: v_dual_mul_f32 v92, 0xbf7ba420, v82
	v_mul_f32_e32 v86, 0xbe8c1d8e, v79
	s_barrier_signal -1
	s_barrier_wait -1
	s_delay_alu instid0(VALU_DEP_2) | instskip(SKIP_4) | instid1(VALU_DEP_3)
	v_dual_add_f32 v75, v75, v68 :: v_dual_mul_f32 v88, 0xbf59a7d5, v79
	global_inv scope:SCOPE_SE
	v_fmamk_f32 v94, v78, 0x3eb8f4ab, v81
	v_mul_f32_e32 v83, 0x3f3d2fb0, v79
	v_dual_add_f32 v75, v75, v66 :: v_dual_fmamk_f32 v96, v78, 0x3f65296c, v84
	v_dual_mul_f32 v85, 0x3dbcf732, v79 :: v_dual_add_f32 v94, v71, v94
	s_delay_alu instid0(VALU_DEP_2) | instskip(NEXT) | instid1(VALU_DEP_2)
	v_dual_fmamk_f32 v102, v73, 0x3f7ee86f, v90 :: v_dual_add_f32 v75, v75, v62
	v_dual_add_f32 v96, v71, v96 :: v_dual_fmamk_f32 v97, v78, 0x3f7ee86f, v85
	v_dual_fmac_f32 v85, 0xbf7ee86f, v78 :: v_dual_fmac_f32 v90, 0xbf7ee86f, v73
	s_delay_alu instid0(VALU_DEP_3) | instskip(NEXT) | instid1(VALU_DEP_3)
	v_add_f32_e32 v75, v75, v58
	v_dual_fmac_f32 v84, 0xbf65296c, v78 :: v_dual_add_f32 v97, v71, v97
	v_fmac_f32_e32 v81, 0xbeb8f4ab, v78
	s_delay_alu instid0(VALU_DEP_3) | instskip(SKIP_1) | instid1(VALU_DEP_4)
	v_dual_add_f32 v68, v68, v74 :: v_dual_add_f32 v75, v75, v31
	v_fmamk_f32 v98, v78, 0x3f763a35, v86
	v_dual_mul_f32 v87, 0xbf1a4643, v79 :: v_dual_add_f32 v84, v71, v84
	s_delay_alu instid0(VALU_DEP_3) | instskip(NEXT) | instid1(VALU_DEP_4)
	v_dual_add_f32 v85, v71, v85 :: v_dual_mul_f32 v72, 0x3ee437d1, v68
	v_add_f32_e32 v75, v75, v26
	v_fmac_f32_e32 v86, 0xbf763a35, v78
	v_dual_mul_f32 v79, 0xbf7ba420, v79 :: v_dual_add_f32 v98, v71, v98
	v_add_f32_e32 v81, v71, v81
	s_delay_alu instid0(VALU_DEP_4) | instskip(NEXT) | instid1(VALU_DEP_3)
	v_dual_add_f32 v75, v75, v27 :: v_dual_fmamk_f32 v100, v78, 0x3f06c442, v88
	v_fmamk_f32 v101, v78, 0x3e3c28d5, v79
	v_dual_fmamk_f32 v95, v78, 0x3f2c7751, v83 :: v_dual_add_f32 v86, v71, v86
	s_delay_alu instid0(VALU_DEP_3) | instskip(NEXT) | instid1(VALU_DEP_4)
	v_dual_add_f32 v75, v75, v56 :: v_dual_fmac_f32 v88, 0xbf06c442, v78
	v_dual_mul_f32 v89, 0x3f3d2fb0, v82 :: v_dual_add_f32 v100, v71, v100
	v_fmac_f32_e32 v83, 0xbf2c7751, v78
	s_delay_alu instid0(VALU_DEP_3) | instskip(NEXT) | instid1(VALU_DEP_4)
	v_add_f32_e32 v75, v75, v60
	v_dual_mul_f32 v91, 0xbf1a4643, v82 :: v_dual_add_f32 v88, v71, v88
	v_fmamk_f32 v99, v78, 0x3f4c4adb, v87
	v_fmac_f32_e32 v79, 0xbe3c28d5, v78
	s_delay_alu instid0(VALU_DEP_4) | instskip(NEXT) | instid1(VALU_DEP_4)
	v_add_f32_e32 v75, v75, v65
	v_fmamk_f32 v103, v73, 0x3f4c4adb, v91
	v_fmac_f32_e32 v91, 0xbf4c4adb, v73
	v_add_f32_e32 v101, v71, v101
	v_fmac_f32_e32 v87, 0xbf4c4adb, v78
	v_dual_add_f32 v75, v75, v70 :: v_dual_fmamk_f32 v78, v73, 0x3f2c7751, v89
	s_delay_alu instid0(VALU_DEP_4) | instskip(SKIP_1) | instid1(VALU_DEP_3)
	v_dual_mul_f32 v93, 0xbf59a7d5, v82 :: v_dual_add_f32 v84, v91, v84
	v_fmac_f32_e32 v89, 0xbf2c7751, v73
	v_add_f32_e32 v75, v75, v74
	v_add_f32_e32 v95, v71, v95
	;; [unrolled: 1-line block ×4, first 2 shown]
	v_dual_add_f32 v87, v71, v87 :: v_dual_add_f32 v78, v78, v94
	v_add_f32_e32 v79, v71, v79
	v_add_f32_e32 v71, v75, v77
	;; [unrolled: 1-line block ×3, first 2 shown]
	v_mul_f32_e32 v89, 0xbe8c1d8e, v82
	v_dual_add_f32 v66, v66, v70 :: v_dual_sub_f32 v63, v63, v69
	s_delay_alu instid0(VALU_DEP_4) | instskip(SKIP_1) | instid1(VALU_DEP_4)
	v_dual_add_f32 v71, v71, v76 :: v_dual_fmamk_f32 v76, v73, 0x3e3c28d5, v92
	v_fmac_f32_e32 v92, 0xbe3c28d5, v73
	v_fmamk_f32 v91, v73, 0xbf763a35, v89
	v_fmac_f32_e32 v89, 0x3f763a35, v73
	v_dual_mul_f32 v69, 0x3dbcf732, v66 :: v_dual_add_f32 v62, v62, v65
	s_delay_alu instid0(VALU_DEP_4) | instskip(NEXT) | instid1(VALU_DEP_3)
	v_dual_add_f32 v85, v92, v85 :: v_dual_mul_f32 v92, 0x3ee437d1, v82
	v_dual_mul_f32 v82, 0x3f6eb680, v82 :: v_dual_add_f32 v87, v89, v87
	s_delay_alu instid0(VALU_DEP_3) | instskip(NEXT) | instid1(VALU_DEP_3)
	v_dual_sub_f32 v61, v61, v64 :: v_dual_mul_f32 v64, 0xbe8c1d8e, v62
	v_fmamk_f32 v74, v73, 0xbf65296c, v92
	v_fmac_f32_e32 v92, 0x3f65296c, v73
	v_dual_add_f32 v76, v76, v97 :: v_dual_add_f32 v81, v90, v83
	v_fmamk_f32 v90, v73, 0xbf06c442, v93
	s_delay_alu instid0(VALU_DEP_4) | instskip(SKIP_4) | instid1(VALU_DEP_4)
	v_dual_add_f32 v74, v74, v100 :: v_dual_fmamk_f32 v89, v73, 0xbeb8f4ab, v82
	v_fmac_f32_e32 v82, 0x3eb8f4ab, v73
	v_fmac_f32_e32 v93, 0x3f06c442, v73
	v_add_f32_e32 v73, v92, v88
	v_dual_mul_f32 v92, 0xbf1a4643, v68 :: v_dual_add_f32 v77, v102, v95
	v_dual_add_f32 v79, v82, v79 :: v_dual_mul_f32 v82, 0xbf7ba420, v68
	v_dual_add_f32 v88, v89, v101 :: v_dual_fmamk_f32 v89, v67, 0x3f65296c, v72
	v_fmac_f32_e32 v72, 0xbf65296c, v67
	v_dual_add_f32 v90, v90, v98 :: v_dual_add_f32 v83, v103, v96
	v_add_f32_e32 v86, v93, v86
	s_delay_alu instid0(VALU_DEP_4) | instskip(NEXT) | instid1(VALU_DEP_4)
	v_add_f32_e32 v78, v89, v78
	v_dual_add_f32 v72, v72, v75 :: v_dual_fmamk_f32 v89, v67, 0x3f4c4adb, v92
	v_fmamk_f32 v75, v67, 0xbe3c28d5, v82
	v_mul_f32_e32 v93, 0xbe8c1d8e, v68
	v_fmac_f32_e32 v82, 0x3e3c28d5, v67
	v_fmac_f32_e32 v92, 0xbf4c4adb, v67
	s_delay_alu instid0(VALU_DEP_4) | instskip(NEXT) | instid1(VALU_DEP_4)
	v_dual_add_f32 v58, v58, v60 :: v_dual_add_f32 v75, v75, v83
	v_fmamk_f32 v83, v67, 0xbf763a35, v93
	s_delay_alu instid0(VALU_DEP_4) | instskip(SKIP_2) | instid1(VALU_DEP_4)
	v_dual_fmac_f32 v93, 0x3f763a35, v67 :: v_dual_add_f32 v82, v82, v84
	v_dual_mul_f32 v84, 0x3f6eb680, v68 :: v_dual_add_f32 v77, v89, v77
	v_mul_f32_e32 v89, 0x3f3d2fb0, v68
	v_dual_add_f32 v76, v83, v76 :: v_dual_add_f32 v81, v92, v81
	s_delay_alu instid0(VALU_DEP_3) | instskip(NEXT) | instid1(VALU_DEP_3)
	v_dual_fmamk_f32 v92, v67, 0x3eb8f4ab, v84 :: v_dual_add_f32 v85, v93, v85
	v_fmamk_f32 v83, v67, 0xbf2c7751, v89
	v_mul_f32_e32 v93, 0x3dbcf732, v68
	v_fmac_f32_e32 v84, 0xbeb8f4ab, v67
	v_mul_f32_e32 v68, 0xbf59a7d5, v68
	v_fmac_f32_e32 v89, 0x3f2c7751, v67
	v_add_f32_e32 v83, v83, v90
	v_fmamk_f32 v90, v67, 0x3f7ee86f, v93
	v_add_f32_e32 v84, v84, v87
	v_add_f32_e32 v91, v91, v99
	v_fmamk_f32 v87, v63, 0x3f7ee86f, v69
	s_delay_alu instid0(VALU_DEP_4) | instskip(SKIP_3) | instid1(VALU_DEP_4)
	v_dual_fmac_f32 v69, 0xbf7ee86f, v63 :: v_dual_add_f32 v70, v90, v74
	v_fmamk_f32 v74, v67, 0x3f06c442, v68
	v_fmac_f32_e32 v68, 0xbf06c442, v67
	v_add_f32_e32 v86, v89, v86
	v_add_f32_e32 v69, v69, v72
	v_fmac_f32_e32 v93, 0xbf7ee86f, v67
	v_dual_add_f32 v67, v74, v88 :: v_dual_mul_f32 v74, 0xbf7ba420, v66
	v_add_f32_e32 v78, v87, v78
	v_add_f32_e32 v26, v26, v27
	v_sub_f32_e32 v24, v24, v25
	s_delay_alu instid0(VALU_DEP_4) | instskip(SKIP_1) | instid1(VALU_DEP_4)
	v_fmamk_f32 v88, v63, 0x3e3c28d5, v74
	v_dual_add_f32 v68, v68, v79 :: v_dual_mul_f32 v79, 0xbe8c1d8e, v66
	v_mul_f32_e32 v25, 0xbf7ba420, v26
	s_delay_alu instid0(VALU_DEP_2) | instskip(SKIP_1) | instid1(VALU_DEP_1)
	v_dual_add_f32 v77, v88, v77 :: v_dual_fmamk_f32 v72, v63, 0xbf763a35, v79
	v_fmac_f32_e32 v79, 0x3f763a35, v63
	v_add_f32_e32 v79, v79, v82
	v_mul_f32_e32 v82, 0xbf59a7d5, v66
	s_delay_alu instid0(VALU_DEP_4) | instskip(NEXT) | instid1(VALU_DEP_1)
	v_dual_add_f32 v72, v72, v75 :: v_dual_mul_f32 v75, 0x3ee437d1, v66
	v_dual_add_f32 v89, v92, v91 :: v_dual_fmamk_f32 v88, v63, 0x3f65296c, v75
	v_fmac_f32_e32 v75, 0xbf65296c, v63
	s_delay_alu instid0(VALU_DEP_1) | instskip(SKIP_4) | instid1(VALU_DEP_3)
	v_add_f32_e32 v75, v75, v86
	v_mul_f32_e32 v86, 0xbf1a4643, v66
	v_fmac_f32_e32 v74, 0xbe3c28d5, v63
	v_mul_f32_e32 v87, 0x3f6eb680, v66
	v_mul_f32_e32 v66, 0x3f3d2fb0, v66
	v_dual_fmamk_f32 v65, v63, 0xbf4c4adb, v86 :: v_dual_add_f32 v74, v74, v81
	s_delay_alu instid0(VALU_DEP_3) | instskip(NEXT) | instid1(VALU_DEP_2)
	v_fmamk_f32 v81, v63, 0xbeb8f4ab, v87
	v_dual_fmac_f32 v86, 0x3f4c4adb, v63 :: v_dual_add_f32 v65, v65, v70
	s_delay_alu instid0(VALU_DEP_2) | instskip(SKIP_2) | instid1(VALU_DEP_3)
	v_dual_fmac_f32 v87, 0x3eb8f4ab, v63 :: v_dual_add_f32 v76, v81, v76
	v_fmamk_f32 v70, v61, 0x3f763a35, v64
	v_fmac_f32_e32 v64, 0xbf763a35, v61
	v_add_f32_e32 v81, v87, v85
	v_fmamk_f32 v85, v63, 0x3f06c442, v82
	v_fmac_f32_e32 v82, 0xbf06c442, v63
	s_delay_alu instid0(VALU_DEP_4) | instskip(SKIP_1) | instid1(VALU_DEP_3)
	v_add_f32_e32 v64, v64, v69
	v_dual_add_f32 v73, v93, v73 :: v_dual_add_f32 v70, v70, v78
	v_dual_add_f32 v85, v85, v89 :: v_dual_add_f32 v82, v82, v84
	v_fmamk_f32 v84, v63, 0xbf2c7751, v66
	v_fmac_f32_e32 v66, 0x3f2c7751, v63
	s_delay_alu instid0(VALU_DEP_2) | instskip(SKIP_2) | instid1(VALU_DEP_4)
	v_dual_add_f32 v67, v84, v67 :: v_dual_mul_f32 v84, 0x3ee437d1, v62
	v_add_f32_e32 v63, v86, v73
	v_mul_f32_e32 v73, 0xbf59a7d5, v62
	v_dual_add_f32 v83, v88, v83 :: v_dual_add_f32 v66, v66, v68
	v_mul_f32_e32 v68, 0x3f3d2fb0, v62
	s_delay_alu instid0(VALU_DEP_3) | instskip(SKIP_1) | instid1(VALU_DEP_1)
	v_fmamk_f32 v78, v61, 0xbf06c442, v73
	v_fmac_f32_e32 v73, 0x3f06c442, v61
	v_add_f32_e32 v73, v73, v74
	v_mul_f32_e32 v74, 0xbf7ba420, v62
	v_fmamk_f32 v69, v61, 0xbf2c7751, v68
	v_add_f32_e32 v77, v78, v77
	v_fmac_f32_e32 v68, 0x3f2c7751, v61
	s_delay_alu instid0(VALU_DEP_3) | instskip(SKIP_2) | instid1(VALU_DEP_4)
	v_dual_mul_f32 v78, 0x3dbcf732, v62 :: v_dual_add_f32 v69, v69, v72
	v_fmamk_f32 v72, v61, 0x3f65296c, v84
	v_fmac_f32_e32 v84, 0xbf65296c, v61
	v_add_f32_e32 v68, v68, v79
	s_delay_alu instid0(VALU_DEP_3) | instskip(NEXT) | instid1(VALU_DEP_3)
	v_add_f32_e32 v72, v72, v76
	v_dual_fmamk_f32 v76, v61, 0x3e3c28d5, v74 :: v_dual_add_f32 v79, v84, v81
	v_fmac_f32_e32 v74, 0xbe3c28d5, v61
	v_fmamk_f32 v81, v61, 0xbf7ee86f, v78
	v_mul_f32_e32 v84, 0x3f6eb680, v62
	v_dual_mul_f32 v62, 0xbf1a4643, v62 :: v_dual_sub_f32 v57, v57, v59
	s_delay_alu instid0(VALU_DEP_3) | instskip(NEXT) | instid1(VALU_DEP_3)
	v_dual_add_f32 v74, v74, v75 :: v_dual_add_f32 v75, v81, v85
	v_dual_fmamk_f32 v81, v61, 0x3eb8f4ab, v84 :: v_dual_add_f32 v76, v76, v83
	v_fmac_f32_e32 v78, 0x3f7ee86f, v61
	v_fmac_f32_e32 v84, 0xbeb8f4ab, v61
	s_delay_alu instid0(VALU_DEP_3) | instskip(SKIP_3) | instid1(VALU_DEP_2)
	v_dual_mul_f32 v59, 0xbf1a4643, v58 :: v_dual_add_f32 v60, v81, v65
	v_fmamk_f32 v65, v61, 0x3f4c4adb, v62
	v_fmac_f32_e32 v62, 0xbf4c4adb, v61
	v_add_f32_e32 v78, v78, v82
	v_add_f32_e32 v62, v62, v66
	s_delay_alu instid0(VALU_DEP_4) | instskip(SKIP_3) | instid1(VALU_DEP_3)
	v_dual_mul_f32 v66, 0x3f6eb680, v58 :: v_dual_add_f32 v61, v65, v67
	v_mul_f32_e32 v65, 0xbe8c1d8e, v58
	v_fmamk_f32 v67, v57, 0x3f4c4adb, v59
	v_add_f32_e32 v63, v84, v63
	v_fmamk_f32 v81, v57, 0xbf763a35, v65
	s_delay_alu instid0(VALU_DEP_3) | instskip(SKIP_1) | instid1(VALU_DEP_3)
	v_add_f32_e32 v67, v67, v70
	v_fmac_f32_e32 v65, 0x3f763a35, v57
	v_dual_add_f32 v70, v81, v77 :: v_dual_mul_f32 v77, 0xbf59a7d5, v58
	s_delay_alu instid0(VALU_DEP_2) | instskip(NEXT) | instid1(VALU_DEP_2)
	v_add_f32_e32 v65, v65, v73
	v_fmamk_f32 v73, v57, 0x3f06c442, v77
	s_delay_alu instid0(VALU_DEP_1) | instskip(SKIP_1) | instid1(VALU_DEP_2)
	v_dual_fmac_f32 v77, 0xbf06c442, v57 :: v_dual_add_f32 v72, v73, v72
	v_fmac_f32_e32 v59, 0xbf4c4adb, v57
	v_add_f32_e32 v73, v77, v79
	s_delay_alu instid0(VALU_DEP_2) | instskip(SKIP_1) | instid1(VALU_DEP_2)
	v_dual_add_f32 v59, v59, v64 :: v_dual_fmamk_f32 v64, v57, 0x3eb8f4ab, v66
	v_fmac_f32_e32 v66, 0xbeb8f4ab, v57
	v_dual_add_f32 v64, v64, v69 :: v_dual_mul_f32 v69, 0x3dbcf732, v58
	s_delay_alu instid0(VALU_DEP_2) | instskip(SKIP_1) | instid1(VALU_DEP_3)
	v_add_f32_e32 v66, v66, v68
	v_mul_f32_e32 v68, 0x3f3d2fb0, v58
	v_fmamk_f32 v81, v57, 0xbf7ee86f, v69
	v_fmac_f32_e32 v69, 0x3f7ee86f, v57
	s_delay_alu instid0(VALU_DEP_3) | instskip(NEXT) | instid1(VALU_DEP_2)
	v_fmamk_f32 v77, v57, 0x3f2c7751, v68
	v_dual_fmac_f32 v68, 0xbf2c7751, v57 :: v_dual_add_f32 v69, v69, v74
	v_mul_f32_e32 v74, 0xbf7ba420, v58
	v_dual_mul_f32 v58, 0x3ee437d1, v58 :: v_dual_add_f32 v31, v31, v56
	s_delay_alu instid0(VALU_DEP_3) | instskip(NEXT) | instid1(VALU_DEP_3)
	v_dual_add_f32 v75, v77, v75 :: v_dual_add_f32 v68, v68, v78
	v_fmamk_f32 v56, v57, 0x3e3c28d5, v74
	v_fmac_f32_e32 v74, 0xbe3c28d5, v57
	s_delay_alu instid0(VALU_DEP_4) | instskip(SKIP_2) | instid1(VALU_DEP_4)
	v_fmamk_f32 v77, v57, 0xbf65296c, v58
	v_mul_f32_e32 v55, 0xbf59a7d5, v31
	v_fmac_f32_e32 v58, 0x3f65296c, v57
	v_dual_add_f32 v56, v56, v60 :: v_dual_add_f32 v57, v74, v63
	s_delay_alu instid0(VALU_DEP_4) | instskip(NEXT) | instid1(VALU_DEP_4)
	v_add_f32_e32 v60, v77, v61
	v_fmamk_f32 v61, v29, 0x3f06c442, v55
	s_delay_alu instid0(VALU_DEP_4) | instskip(SKIP_2) | instid1(VALU_DEP_4)
	v_dual_mul_f32 v63, 0x3ee437d1, v31 :: v_dual_add_f32 v58, v58, v62
	v_fmac_f32_e32 v55, 0xbf06c442, v29
	v_mul_f32_e32 v74, 0xbf1a4643, v31
	v_add_f32_e32 v61, v61, v67
	s_delay_alu instid0(VALU_DEP_4) | instskip(SKIP_2) | instid1(VALU_DEP_3)
	v_fmamk_f32 v67, v29, 0xbf65296c, v63
	v_mul_f32_e32 v62, 0x3dbcf732, v31
	v_add_f32_e32 v55, v55, v59
	v_add_f32_e32 v67, v67, v70
	s_delay_alu instid0(VALU_DEP_3) | instskip(SKIP_2) | instid1(VALU_DEP_3)
	v_fmamk_f32 v59, v29, 0x3f7ee86f, v62
	v_fmac_f32_e32 v62, 0xbf7ee86f, v29
	v_add_f32_e32 v76, v81, v76
	v_dual_add_f32 v59, v59, v64 :: v_dual_fmamk_f32 v64, v29, 0xbf4c4adb, v74
	v_fmac_f32_e32 v74, 0x3f4c4adb, v29
	s_delay_alu instid0(VALU_DEP_4) | instskip(SKIP_1) | instid1(VALU_DEP_4)
	v_add_f32_e32 v62, v62, v66
	v_mul_f32_e32 v66, 0xbf7ba420, v31
	v_add_f32_e32 v64, v64, v72
	s_delay_alu instid0(VALU_DEP_4) | instskip(SKIP_1) | instid1(VALU_DEP_4)
	v_add_f32_e32 v72, v74, v73
	v_fmac_f32_e32 v63, 0x3f65296c, v29
	v_fmamk_f32 v73, v29, 0x3e3c28d5, v66
	v_fmac_f32_e32 v66, 0xbe3c28d5, v29
	s_delay_alu instid0(VALU_DEP_3) | instskip(NEXT) | instid1(VALU_DEP_2)
	v_add_f32_e32 v63, v63, v65
	v_dual_mul_f32 v65, 0x3f6eb680, v31 :: v_dual_add_f32 v66, v66, v68
	s_delay_alu instid0(VALU_DEP_1) | instskip(SKIP_2) | instid1(VALU_DEP_3)
	v_fmamk_f32 v70, v29, 0x3eb8f4ab, v65
	v_fmac_f32_e32 v65, 0xbeb8f4ab, v29
	v_mul_f32_e32 v74, 0x3f3d2fb0, v31
	v_dual_mul_f32 v31, 0xbe8c1d8e, v31 :: v_dual_add_f32 v70, v70, v76
	s_delay_alu instid0(VALU_DEP_3) | instskip(SKIP_1) | instid1(VALU_DEP_4)
	v_add_f32_e32 v65, v65, v69
	v_add_f32_e32 v69, v73, v75
	v_fmamk_f32 v73, v29, 0xbf2c7751, v74
	s_delay_alu instid0(VALU_DEP_1) | instskip(NEXT) | instid1(VALU_DEP_1)
	v_dual_fmac_f32 v74, 0x3f2c7751, v29 :: v_dual_add_f32 v27, v73, v56
	v_dual_fmamk_f32 v56, v29, 0x3f763a35, v31 :: v_dual_add_f32 v57, v74, v57
	v_fmac_f32_e32 v31, 0xbf763a35, v29
	s_delay_alu instid0(VALU_DEP_2) | instskip(SKIP_2) | instid1(VALU_DEP_4)
	v_dual_add_f32 v29, v56, v60 :: v_dual_mul_f32 v56, 0x3f6eb680, v26
	v_fmamk_f32 v60, v24, 0x3e3c28d5, v25
	v_fmac_f32_e32 v25, 0xbe3c28d5, v24
	v_add_f32_e32 v31, v31, v58
	v_mul_f32_e32 v58, 0xbf59a7d5, v26
	v_fmamk_f32 v68, v24, 0xbeb8f4ab, v56
	s_delay_alu instid0(VALU_DEP_4) | instskip(SKIP_1) | instid1(VALU_DEP_4)
	v_dual_add_f32 v60, v60, v61 :: v_dual_add_f32 v55, v25, v55
	v_fmac_f32_e32 v56, 0x3eb8f4ab, v24
	v_fmamk_f32 v25, v24, 0x3f06c442, v58
	s_delay_alu instid0(VALU_DEP_4)
	v_add_f32_e32 v61, v68, v67
	v_mul_f32_e32 v67, 0x3f3d2fb0, v26
	v_fmac_f32_e32 v58, 0xbf06c442, v24
	v_add_f32_e32 v56, v56, v63
	v_add_f32_e32 v25, v25, v59
	v_mul_f32_e32 v59, 0xbf1a4643, v26
	s_delay_alu instid0(VALU_DEP_4) | instskip(SKIP_2) | instid1(VALU_DEP_3)
	v_dual_fmamk_f32 v63, v24, 0xbf2c7751, v67 :: v_dual_add_f32 v58, v58, v62
	v_fmac_f32_e32 v67, 0x3f2c7751, v24
	v_mul_f32_e32 v62, 0x3ee437d1, v26
	v_dual_fmamk_f32 v68, v24, 0x3f4c4adb, v59 :: v_dual_add_f32 v63, v63, v64
	v_fmac_f32_e32 v59, 0xbf4c4adb, v24
	s_delay_alu instid0(VALU_DEP_3) | instskip(NEXT) | instid1(VALU_DEP_3)
	v_dual_add_f32 v64, v67, v72 :: v_dual_fmamk_f32 v67, v24, 0xbf65296c, v62
	v_add_f32_e32 v68, v68, v70
	v_mul_f32_e32 v70, 0xbe8c1d8e, v26
	s_delay_alu instid0(VALU_DEP_4) | instskip(NEXT) | instid1(VALU_DEP_4)
	v_dual_mul_f32 v26, 0x3dbcf732, v26 :: v_dual_add_f32 v59, v59, v65
	v_dual_add_f32 v65, v67, v69 :: v_dual_fmac_f32 v62, 0x3f65296c, v24
	s_delay_alu instid0(VALU_DEP_3) | instskip(SKIP_1) | instid1(VALU_DEP_4)
	v_fmamk_f32 v67, v24, 0x3f763a35, v70
	v_fmac_f32_e32 v70, 0xbf763a35, v24
	v_fmamk_f32 v69, v24, 0xbf7ee86f, v26
	v_fmac_f32_e32 v26, 0x3f7ee86f, v24
	s_delay_alu instid0(VALU_DEP_4) | instskip(NEXT) | instid1(VALU_DEP_4)
	v_dual_add_f32 v24, v62, v66 :: v_dual_add_f32 v27, v67, v27
	v_add_f32_e32 v57, v70, v57
	s_delay_alu instid0(VALU_DEP_3)
	v_dual_add_f32 v29, v69, v29 :: v_dual_add_f32 v26, v26, v31
	ds_store_2addr_b32 v80, v71, v60 offset1:17
	ds_store_2addr_b32 v80, v61, v25 offset0:34 offset1:51
	ds_store_2addr_b32 v80, v63, v68 offset0:68 offset1:85
	;; [unrolled: 1-line block ×7, first 2 shown]
	ds_store_b32 v80, v55 offset:1088
	global_wb scope:SCOPE_SE
	s_wait_dscnt 0x0
	s_barrier_signal -1
	s_barrier_wait -1
	global_inv scope:SCOPE_SE
	ds_load_2addr_b32 v[24:25], v28 offset0:33 offset1:67
	ds_load_2addr_b32 v[26:27], v28 offset0:101 offset1:135
	;; [unrolled: 1-line block ×4, first 2 shown]
	ds_load_b32 v58, v2
	ds_load_b32 v57, v12
	;; [unrolled: 1-line block ×8, first 2 shown]
                                        ; implicit-def: $vgpr32
	s_and_saveexec_b32 s1, s0
	s_cbranch_execz .LBB0_16
; %bb.15:
	ds_load_b32 v55, v34
	ds_load_b32 v32, v10 offset:2244
	v_mov_b32_e32 v15, v8
.LBB0_16:
	s_wait_alu 0xfffe
	s_or_b32 exec_lo, exec_lo, s1
	s_and_saveexec_b32 s1, vcc_lo
	s_cbranch_execz .LBB0_19
; %bb.17:
	v_dual_mov_b32 v2, 0 :: v_dual_add_nc_u32 v99, 0x143, v0
	v_mad_co_u64_u32 v[70:71], null, s8, v50, 0
	v_mad_co_u64_u32 v[68:69], null, s8, v0, 0
	s_delay_alu instid0(VALU_DEP_3) | instskip(SKIP_3) | instid1(VALU_DEP_3)
	v_mov_b32_e32 v14, v2
	v_dual_mov_b32 v8, v2 :: v_dual_add_nc_u32 v103, 0x1cb, v0
	v_lshlrev_b64_e32 v[60:61], 3, v[1:2]
	v_dual_mov_b32 v12, v2 :: v_dual_mov_b32 v1, v2
	v_lshlrev_b64_e32 v[62:63], 3, v[7:8]
	v_mov_b32_e32 v7, v2
	v_lshlrev_b64_e32 v[13:14], 3, v[13:14]
	v_dual_mov_b32 v10, v2 :: v_dual_add_nc_u32 v101, 0x187, v0
	v_lshlrev_b64_e32 v[11:12], 3, v[11:12]
	v_add_co_u32 v60, vcc_lo, s4, v60
	s_wait_alu 0xfffd
	v_add_co_ci_u32_e32 v61, vcc_lo, s5, v61, vcc_lo
	v_lshlrev_b64_e32 v[9:10], 3, v[9:10]
	v_add_co_u32 v13, vcc_lo, s4, v13
	s_wait_alu 0xfffd
	v_add_co_ci_u32_e32 v14, vcc_lo, s5, v14, vcc_lo
	v_add_co_u32 v11, vcc_lo, s4, v11
	s_wait_alu 0xfffd
	v_add_co_ci_u32_e32 v12, vcc_lo, s5, v12, vcc_lo
	v_add_co_u32 v8, vcc_lo, s4, v9
	v_lshlrev_b64_e32 v[64:65], 3, v[6:7]
	v_mov_b32_e32 v6, v2
	s_wait_alu 0xfffd
	v_add_co_ci_u32_e32 v9, vcc_lo, s5, v10, vcc_lo
	v_add_co_u32 v62, vcc_lo, s4, v62
	s_wait_alu 0xfffd
	v_add_co_ci_u32_e32 v63, vcc_lo, s5, v63, vcc_lo
	s_clause 0x4
	global_load_b64 v[60:61], v[60:61], off offset:2176
	global_load_b64 v[13:14], v[13:14], off offset:2176
	global_load_b64 v[10:11], v[11:12], off offset:2176
	global_load_b64 v[7:8], v[8:9], off offset:2176
	global_load_b64 v[62:63], v[62:63], off offset:2176
	v_mov_b32_e32 v9, v71
	v_lshlrev_b64_e32 v[5:6], 3, v[5:6]
	v_add_co_u32 v64, vcc_lo, s4, v64
	v_lshlrev_b64_e32 v[66:67], 3, v[0:1]
	s_wait_alu 0xfffd
	v_add_co_ci_u32_e32 v65, vcc_lo, s5, v65, vcc_lo
	s_delay_alu instid0(VALU_DEP_4)
	v_add_co_u32 v5, vcc_lo, s4, v5
	s_wait_alu 0xfffd
	v_add_co_ci_u32_e32 v6, vcc_lo, s5, v6, vcc_lo
	v_add_co_u32 v66, vcc_lo, s4, v66
	s_wait_alu 0xfffd
	v_add_co_ci_u32_e32 v67, vcc_lo, s5, v67, vcc_lo
	s_clause 0x2
	global_load_b64 v[64:65], v[64:65], off offset:2176
	global_load_b64 v[5:6], v[5:6], off offset:2176
	;; [unrolled: 1-line block ×3, first 2 shown]
	v_mad_co_u64_u32 v[76:77], null, s8, v51, 0
	v_add_nc_u32_e32 v98, 0x121, v0
	v_mad_co_u64_u32 v[72:73], null, s8, v54, 0
	v_mad_co_u64_u32 v[74:75], null, s8, v52, 0
	v_mul_hi_u32 v92, 0xe2c4a689, v48
	v_mul_hi_u32 v93, 0xe2c4a689, v53
	v_add_co_u32 v1, vcc_lo, s10, v3
	v_mad_co_u64_u32 v[78:79], null, s8, v49, 0
	s_wait_alu 0xfffd
	v_add_co_ci_u32_e32 v3, vcc_lo, s11, v4, vcc_lo
	v_mov_b32_e32 v4, v69
	v_mad_co_u64_u32 v[82:83], null, s8, v99, 0
	v_mov_b32_e32 v69, v77
	v_mad_co_u64_u32 v[80:81], null, s8, v98, 0
	v_dual_mov_b32 v71, v79 :: v_dual_add_nc_u32 v100, 0x165, v0
	v_add_nc_u32_e32 v102, 0x1a9, v0
	v_mad_co_u64_u32 v[90:91], null, s8, v103, 0
	v_mov_b32_e32 v12, v73
	v_mov_b32_e32 v34, v75
	v_lshrrev_b32_e32 v73, 8, v92
	v_lshrrev_b32_e32 v75, 8, v93
	v_mad_co_u64_u32 v[84:85], null, s8, v100, 0
	v_mad_co_u64_u32 v[86:87], null, s8, v101, 0
	s_delay_alu instid0(VALU_DEP_3)
	v_mad_u32_u24 v105, 0x121, v75, v53
	v_mad_u32_u24 v104, 0x121, v73, v48
	s_wait_loadcnt 0x1
	v_mad_co_u64_u32 v[92:93], null, s9, v0, v[4:5]
	v_mad_co_u64_u32 v[93:94], null, s9, v50, v[9:10]
	v_dual_mov_b32 v4, v81 :: v_dual_mov_b32 v9, v83
	v_mad_co_u64_u32 v[88:89], null, s8, v102, 0
	v_mad_co_u64_u32 v[94:95], null, s9, v54, v[12:13]
	;; [unrolled: 1-line block ×3, first 2 shown]
	v_mov_b32_e32 v69, v92
	s_wait_dscnt 0x2
	v_mad_co_u64_u32 v[95:96], null, s9, v52, v[34:35]
	v_mad_co_u64_u32 v[96:97], null, s9, v49, v[71:72]
	v_mov_b32_e32 v71, v93
	v_mad_co_u64_u32 v[52:53], null, s9, v98, v[4:5]
	v_dual_mov_b32 v12, v85 :: v_dual_mov_b32 v73, v94
	v_dual_mov_b32 v34, v87 :: v_dual_mov_b32 v75, v95
	v_mov_b32_e32 v51, v89
	s_delay_alu instid0(VALU_DEP_3) | instskip(SKIP_1) | instid1(VALU_DEP_4)
	v_mad_co_u64_u32 v[97:98], null, s9, v100, v[12:13]
	v_mad_co_u64_u32 v[53:54], null, s9, v99, v[9:10]
	;; [unrolled: 1-line block ×3, first 2 shown]
	v_mov_b32_e32 v49, v91
	v_mad_co_u64_u32 v[99:100], null, s9, v102, v[51:52]
	v_mad_co_u64_u32 v[100:101], null, s8, v104, 0
	v_dual_mov_b32 v77, v50 :: v_dual_add_nc_u32 v12, 0x121, v104
	s_delay_alu instid0(VALU_DEP_4) | instskip(SKIP_1) | instid1(VALU_DEP_3)
	v_mad_co_u64_u32 v[48:49], null, s9, v103, v[49:50]
	v_mad_co_u64_u32 v[102:103], null, s8, v105, 0
	;; [unrolled: 1-line block ×3, first 2 shown]
	v_lshlrev_b64_e32 v[68:69], 3, v[68:69]
	v_dual_mov_b32 v81, v52 :: v_dual_mov_b32 v4, v101
	v_mov_b32_e32 v85, v97
	v_mov_b32_e32 v89, v99
	v_lshlrev_b64_e32 v[51:52], 3, v[70:71]
	v_dual_mov_b32 v79, v96 :: v_dual_add_nc_u32 v34, 0x121, v105
	v_mov_b32_e32 v83, v53
	v_mov_b32_e32 v87, v98
	;; [unrolled: 1-line block ×4, first 2 shown]
	v_lshlrev_b64_e32 v[53:54], 3, v[72:73]
	v_lshlrev_b64_e32 v[72:73], 3, v[76:77]
	;; [unrolled: 1-line block ×5, first 2 shown]
	v_mad_co_u64_u32 v[88:89], null, s9, v104, v[4:5]
	v_mov_b32_e32 v4, v50
	v_add_co_u32 v68, vcc_lo, v1, v68
	s_wait_alu 0xfffd
	v_add_co_ci_u32_e32 v69, vcc_lo, v3, v69, vcc_lo
	v_lshlrev_b64_e32 v[70:71], 3, v[74:75]
	v_lshlrev_b64_e32 v[74:75], 3, v[78:79]
	;; [unrolled: 1-line block ×5, first 2 shown]
	v_mad_co_u64_u32 v[89:90], null, s9, v105, v[9:10]
	v_add_co_u32 v51, vcc_lo, v1, v51
	v_mad_co_u64_u32 v[92:93], null, s8, v34, 0
	v_mad_co_u64_u32 v[90:91], null, s9, v12, v[4:5]
	s_wait_alu 0xfffd
	v_add_co_ci_u32_e32 v52, vcc_lo, v3, v52, vcc_lo
	v_add_co_u32 v53, vcc_lo, v1, v53
	s_wait_alu 0xfffd
	v_add_co_ci_u32_e32 v54, vcc_lo, v3, v54, vcc_lo
	v_add_co_u32 v70, vcc_lo, v1, v70
	;; [unrolled: 3-line block ×3, first 2 shown]
	v_mov_b32_e32 v50, v90
	v_mul_f32_e32 v4, v23, v61
	v_dual_mul_f32 v12, v31, v61 :: v_dual_mov_b32 v9, v93
	s_wait_alu 0xfffd
	v_add_co_ci_u32_e32 v73, vcc_lo, v3, v73, vcc_lo
	v_add_co_u32 v74, vcc_lo, v1, v74
	s_delay_alu instid0(VALU_DEP_3)
	v_fmac_f32_e32 v12, v23, v60
	s_wait_alu 0xfffd
	v_add_co_ci_u32_e32 v75, vcc_lo, v3, v75, vcc_lo
	v_mad_co_u64_u32 v[93:94], null, s9, v34, v[9:10]
	v_mov_b32_e32 v101, v88
	v_mov_b32_e32 v103, v89
	v_lshlrev_b64_e32 v[48:49], 3, v[49:50]
	v_mul_f32_e32 v50, v28, v8
	v_fma_f32 v4, v31, v60, -v4
	v_mul_f32_e32 v23, v22, v14
	v_mul_f32_e32 v14, v30, v14
	;; [unrolled: 1-line block ×6, first 2 shown]
	v_dual_mul_f32 v65, v26, v65 :: v_dual_fmac_f32 v50, v20, v7
	v_add_co_u32 v76, vcc_lo, v1, v76
	s_wait_alu 0xfffd
	v_add_co_ci_u32_e32 v77, vcc_lo, v3, v77, vcc_lo
	v_add_co_u32 v78, vcc_lo, v1, v78
	v_dual_fmac_f32 v34, v21, v10 :: v_dual_fmac_f32 v65, v18, v64
	s_wait_alu 0xfffd
	v_add_co_ci_u32_e32 v79, vcc_lo, v3, v79, vcc_lo
	v_add_co_u32 v80, vcc_lo, v1, v80
	s_wait_alu 0xfffd
	v_add_co_ci_u32_e32 v81, vcc_lo, v3, v81, vcc_lo
	v_add_co_u32 v82, vcc_lo, v1, v82
	v_mul_f32_e32 v31, v21, v11
	v_dual_mul_f32 v11, v20, v8 :: v_dual_mul_f32 v94, v17, v6
	v_dual_fmac_f32 v14, v22, v13 :: v_dual_fmac_f32 v61, v19, v62
	v_dual_sub_f32 v18, v40, v65 :: v_dual_mul_f32 v95, v25, v6
	s_wait_loadcnt 0x0
	v_mul_f32_e32 v6, v16, v67
	v_mul_f32_e32 v67, v24, v67
	s_wait_alu 0xfffd
	v_add_co_ci_u32_e32 v83, vcc_lo, v3, v83, vcc_lo
	v_add_co_u32 v84, vcc_lo, v1, v84
	v_lshlrev_b64_e32 v[88:89], 3, v[100:101]
	s_wait_alu 0xfffd
	v_add_co_ci_u32_e32 v85, vcc_lo, v3, v85, vcc_lo
	v_sub_f32_e32 v8, v47, v12
	v_fma_f32 v12, v30, v13, -v23
	v_fma_f32 v13, v29, v10, -v31
	;; [unrolled: 1-line block ×5, first 2 shown]
	v_sub_f32_e32 v6, v46, v14
	v_fmac_f32_e32 v67, v16, v66
	v_add_co_u32 v86, vcc_lo, v1, v86
	v_lshlrev_b64_e32 v[90:91], 3, v[102:103]
	v_fma_f32 v20, v27, v62, -v60
	v_sub_f32_e32 v16, v43, v61
	v_fmac_f32_e32 v95, v17, v5
	s_wait_alu 0xfffd
	v_add_co_ci_u32_e32 v87, vcc_lo, v3, v87, vcc_lo
	v_add_co_u32 v88, vcc_lo, v1, v88
	v_fma_f32 v19, v26, v64, -v63
	v_sub_f32_e32 v11, v35, v13
	v_sub_f32_e32 v13, v33, v21
	v_dual_sub_f32 v21, v57, v22 :: v_dual_sub_f32 v22, v42, v67
	v_sub_f32_e32 v23, v58, v23
	s_wait_alu 0xfffd
	v_add_co_ci_u32_e32 v89, vcc_lo, v3, v89, vcc_lo
	v_lshlrev_b64_e32 v[92:93], 3, v[92:93]
	v_add_co_u32 v90, vcc_lo, v1, v90
	s_wait_dscnt 0x1
	v_sub_f32_e32 v7, v36, v12
	v_dual_sub_f32 v17, v59, v20 :: v_dual_sub_f32 v20, v41, v95
	s_wait_alu 0xfffd
	v_add_co_ci_u32_e32 v91, vcc_lo, v3, v91, vcc_lo
	v_sub_f32_e32 v19, v56, v19
	v_add_co_u32 v48, vcc_lo, v1, v48
	s_wait_dscnt 0x0
	v_dual_sub_f32 v9, v37, v4 :: v_dual_sub_f32 v12, v44, v50
	v_sub_f32_e32 v10, v45, v34
	v_fma_f32 v29, v33, 2.0, -v13
	v_fma_f32 v34, v58, 2.0, -v23
	;; [unrolled: 1-line block ×3, first 2 shown]
	s_wait_alu 0xfffd
	v_add_co_ci_u32_e32 v49, vcc_lo, v3, v49, vcc_lo
	v_fma_f32 v25, v36, 2.0, -v7
	v_fma_f32 v27, v35, 2.0, -v11
	v_fma_f32 v36, v57, 2.0, -v21
	v_fma_f32 v35, v41, 2.0, -v20
	v_add_co_u32 v92, vcc_lo, v1, v92
	v_fma_f32 v41, v56, 2.0, -v19
	v_fma_f32 v40, v40, 2.0, -v18
	s_wait_alu 0xfffd
	v_add_co_ci_u32_e32 v93, vcc_lo, v3, v93, vcc_lo
	v_fma_f32 v5, v37, 2.0, -v9
	v_fma_f32 v4, v47, 2.0, -v8
	;; [unrolled: 1-line block ×7, first 2 shown]
	s_clause 0xf
	global_store_b64 v[68:69], v[33:34], off
	global_store_b64 v[76:77], v[22:23], off
	;; [unrolled: 1-line block ×16, first 2 shown]
	s_and_b32 exec_lo, exec_lo, s0
	s_cbranch_execz .LBB0_19
; %bb.18:
	v_dual_mov_b32 v16, v2 :: v_dual_add_nc_u32 v11, 0x231, v0
	v_add_nc_u32_e32 v10, 0x110, v0
	s_delay_alu instid0(VALU_DEP_2) | instskip(NEXT) | instid1(VALU_DEP_3)
	v_lshlrev_b64_e32 v[4:5], 3, v[15:16]
	v_mad_co_u64_u32 v[8:9], null, s8, v11, 0
	s_delay_alu instid0(VALU_DEP_3) | instskip(NEXT) | instid1(VALU_DEP_3)
	v_mad_co_u64_u32 v[6:7], null, s8, v10, 0
	v_add_co_u32 v4, vcc_lo, s4, v4
	s_wait_alu 0xfffd
	s_delay_alu instid0(VALU_DEP_4) | instskip(NEXT) | instid1(VALU_DEP_4)
	v_add_co_ci_u32_e32 v5, vcc_lo, s5, v5, vcc_lo
	v_mov_b32_e32 v2, v9
	s_delay_alu instid0(VALU_DEP_4) | instskip(SKIP_3) | instid1(VALU_DEP_2)
	v_mov_b32_e32 v0, v7
	global_load_b64 v[4:5], v[4:5], off offset:2176
	v_mad_co_u64_u32 v[9:10], null, s9, v10, v[0:1]
	v_mad_co_u64_u32 v[10:11], null, s9, v11, v[2:3]
	v_mov_b32_e32 v7, v9
	s_wait_loadcnt 0x0
	s_delay_alu instid0(VALU_DEP_2) | instskip(NEXT) | instid1(VALU_DEP_1)
	v_dual_mov_b32 v9, v10 :: v_dual_mul_f32 v2, v39, v5
	v_fma_f32 v2, v32, v4, -v2
	v_mul_f32_e32 v0, v32, v5
	s_delay_alu instid0(VALU_DEP_1) | instskip(SKIP_2) | instid1(VALU_DEP_3)
	v_fmac_f32_e32 v0, v39, v4
	v_lshlrev_b64_e32 v[4:5], 3, v[6:7]
	v_lshlrev_b64_e32 v[6:7], 3, v[8:9]
	v_dual_sub_f32 v9, v55, v2 :: v_dual_sub_f32 v8, v38, v0
	s_delay_alu instid0(VALU_DEP_3) | instskip(SKIP_1) | instid1(VALU_DEP_4)
	v_add_co_u32 v4, vcc_lo, v1, v4
	s_wait_alu 0xfffd
	v_add_co_ci_u32_e32 v5, vcc_lo, v3, v5, vcc_lo
	s_delay_alu instid0(VALU_DEP_4)
	v_add_co_u32 v0, vcc_lo, v1, v6
	v_fma_f32 v10, v38, 2.0, -v8
	v_fma_f32 v11, v55, 2.0, -v9
	s_wait_alu 0xfffd
	v_add_co_ci_u32_e32 v1, vcc_lo, v3, v7, vcc_lo
	s_clause 0x1
	global_store_b64 v[4:5], v[10:11], off
	global_store_b64 v[0:1], v[8:9], off
.LBB0_19:
	s_nop 0
	s_sendmsg sendmsg(MSG_DEALLOC_VGPRS)
	s_endpgm
	.section	.rodata,"a",@progbits
	.p2align	6, 0x0
	.amdhsa_kernel fft_rtc_back_len578_factors_17_17_2_wgs_238_tpt_34_halfLds_sp_ip_CI_sbrr_dirReg
		.amdhsa_group_segment_fixed_size 0
		.amdhsa_private_segment_fixed_size 0
		.amdhsa_kernarg_size 88
		.amdhsa_user_sgpr_count 2
		.amdhsa_user_sgpr_dispatch_ptr 0
		.amdhsa_user_sgpr_queue_ptr 0
		.amdhsa_user_sgpr_kernarg_segment_ptr 1
		.amdhsa_user_sgpr_dispatch_id 0
		.amdhsa_user_sgpr_private_segment_size 0
		.amdhsa_wavefront_size32 1
		.amdhsa_uses_dynamic_stack 0
		.amdhsa_enable_private_segment 0
		.amdhsa_system_sgpr_workgroup_id_x 1
		.amdhsa_system_sgpr_workgroup_id_y 0
		.amdhsa_system_sgpr_workgroup_id_z 0
		.amdhsa_system_sgpr_workgroup_info 0
		.amdhsa_system_vgpr_workitem_id 0
		.amdhsa_next_free_vgpr 106
		.amdhsa_next_free_sgpr 35
		.amdhsa_reserve_vcc 1
		.amdhsa_float_round_mode_32 0
		.amdhsa_float_round_mode_16_64 0
		.amdhsa_float_denorm_mode_32 3
		.amdhsa_float_denorm_mode_16_64 3
		.amdhsa_fp16_overflow 0
		.amdhsa_workgroup_processor_mode 1
		.amdhsa_memory_ordered 1
		.amdhsa_forward_progress 0
		.amdhsa_round_robin_scheduling 0
		.amdhsa_exception_fp_ieee_invalid_op 0
		.amdhsa_exception_fp_denorm_src 0
		.amdhsa_exception_fp_ieee_div_zero 0
		.amdhsa_exception_fp_ieee_overflow 0
		.amdhsa_exception_fp_ieee_underflow 0
		.amdhsa_exception_fp_ieee_inexact 0
		.amdhsa_exception_int_div_zero 0
	.end_amdhsa_kernel
	.text
.Lfunc_end0:
	.size	fft_rtc_back_len578_factors_17_17_2_wgs_238_tpt_34_halfLds_sp_ip_CI_sbrr_dirReg, .Lfunc_end0-fft_rtc_back_len578_factors_17_17_2_wgs_238_tpt_34_halfLds_sp_ip_CI_sbrr_dirReg
                                        ; -- End function
	.section	.AMDGPU.csdata,"",@progbits
; Kernel info:
; codeLenInByte = 16868
; NumSgprs: 37
; NumVgprs: 106
; ScratchSize: 0
; MemoryBound: 0
; FloatMode: 240
; IeeeMode: 1
; LDSByteSize: 0 bytes/workgroup (compile time only)
; SGPRBlocks: 4
; VGPRBlocks: 13
; NumSGPRsForWavesPerEU: 37
; NumVGPRsForWavesPerEU: 106
; Occupancy: 12
; WaveLimiterHint : 1
; COMPUTE_PGM_RSRC2:SCRATCH_EN: 0
; COMPUTE_PGM_RSRC2:USER_SGPR: 2
; COMPUTE_PGM_RSRC2:TRAP_HANDLER: 0
; COMPUTE_PGM_RSRC2:TGID_X_EN: 1
; COMPUTE_PGM_RSRC2:TGID_Y_EN: 0
; COMPUTE_PGM_RSRC2:TGID_Z_EN: 0
; COMPUTE_PGM_RSRC2:TIDIG_COMP_CNT: 0
	.text
	.p2alignl 7, 3214868480
	.fill 96, 4, 3214868480
	.type	__hip_cuid_d7a421b26f276309,@object ; @__hip_cuid_d7a421b26f276309
	.section	.bss,"aw",@nobits
	.globl	__hip_cuid_d7a421b26f276309
__hip_cuid_d7a421b26f276309:
	.byte	0                               ; 0x0
	.size	__hip_cuid_d7a421b26f276309, 1

	.ident	"AMD clang version 19.0.0git (https://github.com/RadeonOpenCompute/llvm-project roc-6.4.0 25133 c7fe45cf4b819c5991fe208aaa96edf142730f1d)"
	.section	".note.GNU-stack","",@progbits
	.addrsig
	.addrsig_sym __hip_cuid_d7a421b26f276309
	.amdgpu_metadata
---
amdhsa.kernels:
  - .args:
      - .actual_access:  read_only
        .address_space:  global
        .offset:         0
        .size:           8
        .value_kind:     global_buffer
      - .offset:         8
        .size:           8
        .value_kind:     by_value
      - .actual_access:  read_only
        .address_space:  global
        .offset:         16
        .size:           8
        .value_kind:     global_buffer
      - .actual_access:  read_only
        .address_space:  global
        .offset:         24
        .size:           8
        .value_kind:     global_buffer
      - .offset:         32
        .size:           8
        .value_kind:     by_value
      - .actual_access:  read_only
        .address_space:  global
        .offset:         40
        .size:           8
        .value_kind:     global_buffer
      - .actual_access:  read_only
        .address_space:  global
        .offset:         48
        .size:           8
        .value_kind:     global_buffer
      - .offset:         56
        .size:           4
        .value_kind:     by_value
      - .actual_access:  read_only
        .address_space:  global
        .offset:         64
        .size:           8
        .value_kind:     global_buffer
      - .actual_access:  read_only
        .address_space:  global
        .offset:         72
        .size:           8
        .value_kind:     global_buffer
      - .address_space:  global
        .offset:         80
        .size:           8
        .value_kind:     global_buffer
    .group_segment_fixed_size: 0
    .kernarg_segment_align: 8
    .kernarg_segment_size: 88
    .language:       OpenCL C
    .language_version:
      - 2
      - 0
    .max_flat_workgroup_size: 238
    .name:           fft_rtc_back_len578_factors_17_17_2_wgs_238_tpt_34_halfLds_sp_ip_CI_sbrr_dirReg
    .private_segment_fixed_size: 0
    .sgpr_count:     37
    .sgpr_spill_count: 0
    .symbol:         fft_rtc_back_len578_factors_17_17_2_wgs_238_tpt_34_halfLds_sp_ip_CI_sbrr_dirReg.kd
    .uniform_work_group_size: 1
    .uses_dynamic_stack: false
    .vgpr_count:     106
    .vgpr_spill_count: 0
    .wavefront_size: 32
    .workgroup_processor_mode: 1
amdhsa.target:   amdgcn-amd-amdhsa--gfx1201
amdhsa.version:
  - 1
  - 2
...

	.end_amdgpu_metadata
